;; amdgpu-corpus repo=ROCm/rocFFT kind=compiled arch=gfx906 opt=O3
	.text
	.amdgcn_target "amdgcn-amd-amdhsa--gfx906"
	.amdhsa_code_object_version 6
	.protected	bluestein_single_fwd_len220_dim1_half_op_CI_CI ; -- Begin function bluestein_single_fwd_len220_dim1_half_op_CI_CI
	.globl	bluestein_single_fwd_len220_dim1_half_op_CI_CI
	.p2align	8
	.type	bluestein_single_fwd_len220_dim1_half_op_CI_CI,@function
bluestein_single_fwd_len220_dim1_half_op_CI_CI: ; @bluestein_single_fwd_len220_dim1_half_op_CI_CI
; %bb.0:
	v_mul_u32_u24_e32 v1, 0xba3, v0
	s_load_dwordx4 s[8:11], s[4:5], 0x28
	v_lshrrev_b32_e32 v1, 16, v1
	v_mad_u64_u32 v[8:9], s[0:1], s6, 5, v[1:2]
	v_mov_b32_e32 v9, 0
	s_waitcnt lgkmcnt(0)
	v_cmp_gt_u64_e32 vcc, s[8:9], v[8:9]
	s_and_saveexec_b64 s[0:1], vcc
	s_cbranch_execz .LBB0_10
; %bb.1:
	s_load_dwordx4 s[0:3], s[4:5], 0x18
	s_load_dwordx4 s[12:15], s[4:5], 0x0
	v_mul_lo_u16_e32 v1, 22, v1
	v_sub_u16_e32 v33, v0, v1
	v_lshlrev_b32_e32 v36, 2, v33
	s_waitcnt lgkmcnt(0)
	s_load_dwordx4 s[16:19], s[0:1], 0x0
	global_load_dword v34, v36, s[12:13]
	s_mov_b32 s6, 0xb8b4
	s_movk_i32 s7, 0x3a79
                                        ; implicit-def: $vgpr62
                                        ; implicit-def: $vgpr63
	s_waitcnt lgkmcnt(0)
	v_mad_u64_u32 v[0:1], s[0:1], s18, v8, 0
	v_mad_u64_u32 v[2:3], s[0:1], s16, v33, 0
	;; [unrolled: 1-line block ×4, first 2 shown]
	v_mov_b32_e32 v1, v4
	v_lshlrev_b64 v[0:1], 2, v[0:1]
	v_mov_b32_e32 v6, s11
	v_mov_b32_e32 v3, v5
	v_add_co_u32_e32 v4, vcc, s10, v0
	v_addc_co_u32_e32 v5, vcc, v6, v1, vcc
	v_lshlrev_b64 v[0:1], 2, v[2:3]
	s_mul_i32 s0, s17, 0x58
	v_add_co_u32_e32 v0, vcc, v4, v0
	s_mul_hi_u32 s1, s16, 0x58
	v_addc_co_u32_e32 v1, vcc, v5, v1, vcc
	s_add_i32 s0, s1, s0
	s_mul_i32 s1, s16, 0x58
	global_load_dword v2, v[0:1], off
	v_mov_b32_e32 v3, s0
	v_add_co_u32_e32 v0, vcc, s1, v0
	v_addc_co_u32_e32 v1, vcc, v1, v3, vcc
	global_load_dword v3, v[0:1], off
	global_load_dword v32, v36, s[12:13] offset:88
	v_mov_b32_e32 v4, s0
	v_add_co_u32_e32 v0, vcc, s1, v0
	v_addc_co_u32_e32 v1, vcc, v1, v4, vcc
	global_load_dword v4, v[0:1], off
	global_load_dword v31, v36, s[12:13] offset:176
	;; [unrolled: 5-line block ×9, first 2 shown]
	s_mov_b32 s0, 0xcccccccd
	v_mul_hi_u32 v0, v8, s0
	s_load_dwordx4 s[8:11], s[2:3], 0x0
	s_movk_i32 s0, 0x3b9c
	s_mov_b32 s3, 0xbb9c
	v_lshrrev_b32_e32 v0, 2, v0
	v_lshl_add_u32 v0, v0, 2, v0
	v_sub_u32_e32 v0, v8, v0
	v_mul_u32_u24_e32 v0, 0xdc, v0
	v_lshlrev_b32_e32 v35, 2, v0
	v_add_u32_e32 v25, v36, v35
	s_movk_i32 s1, 0x38b4
	s_movk_i32 s2, 0x34f2
	s_waitcnt vmcnt(18)
	v_lshrrev_b32_e32 v1, 16, v2
	v_mul_f16_sdwa v0, v34, v2 dst_sel:DWORD dst_unused:UNUSED_PAD src0_sel:WORD_1 src1_sel:DWORD
	v_mul_f16_sdwa v13, v34, v1 dst_sel:DWORD dst_unused:UNUSED_PAD src0_sel:WORD_1 src1_sel:DWORD
	v_fma_f16 v0, v34, v1, -v0
	v_fma_f16 v13, v34, v2, v13
	s_waitcnt vmcnt(17)
	v_lshrrev_b32_e32 v1, 16, v3
	s_waitcnt vmcnt(16)
	v_mul_f16_sdwa v2, v32, v1 dst_sel:DWORD dst_unused:UNUSED_PAD src0_sel:WORD_1 src1_sel:DWORD
	v_fma_f16 v2, v32, v3, v2
	v_mul_f16_sdwa v3, v32, v3 dst_sel:DWORD dst_unused:UNUSED_PAD src0_sel:WORD_1 src1_sel:DWORD
	v_fma_f16 v1, v32, v1, -v3
	v_pack_b32_f16 v0, v13, v0
	v_pack_b32_f16 v1, v2, v1
	ds_write2_b32 v25, v0, v1 offset1:22
	s_waitcnt vmcnt(15)
	v_lshrrev_b32_e32 v0, 16, v4
	s_waitcnt vmcnt(14)
	v_mul_f16_sdwa v1, v31, v0 dst_sel:DWORD dst_unused:UNUSED_PAD src0_sel:WORD_1 src1_sel:DWORD
	v_mul_f16_sdwa v2, v31, v4 dst_sel:DWORD dst_unused:UNUSED_PAD src0_sel:WORD_1 src1_sel:DWORD
	v_fma_f16 v1, v31, v4, v1
	v_fma_f16 v0, v31, v0, -v2
	v_pack_b32_f16 v0, v1, v0
	s_waitcnt vmcnt(13)
	v_lshrrev_b32_e32 v1, 16, v5
	s_waitcnt vmcnt(12)
	v_mul_f16_sdwa v2, v30, v1 dst_sel:DWORD dst_unused:UNUSED_PAD src0_sel:WORD_1 src1_sel:DWORD
	v_mul_f16_sdwa v3, v30, v5 dst_sel:DWORD dst_unused:UNUSED_PAD src0_sel:WORD_1 src1_sel:DWORD
	v_fma_f16 v2, v30, v5, v2
	v_fma_f16 v1, v30, v1, -v3
	v_pack_b32_f16 v1, v2, v1
	ds_write2_b32 v25, v0, v1 offset0:44 offset1:66
	s_waitcnt vmcnt(11)
	v_lshrrev_b32_e32 v0, 16, v6
	s_waitcnt vmcnt(10)
	v_mul_f16_sdwa v1, v29, v0 dst_sel:DWORD dst_unused:UNUSED_PAD src0_sel:WORD_1 src1_sel:DWORD
	v_mul_f16_sdwa v2, v29, v6 dst_sel:DWORD dst_unused:UNUSED_PAD src0_sel:WORD_1 src1_sel:DWORD
	v_fma_f16 v1, v29, v6, v1
	v_fma_f16 v0, v29, v0, -v2
	v_pack_b32_f16 v0, v1, v0
	s_waitcnt vmcnt(9)
	v_lshrrev_b32_e32 v1, 16, v7
	s_waitcnt vmcnt(8)
	v_mul_f16_sdwa v2, v28, v1 dst_sel:DWORD dst_unused:UNUSED_PAD src0_sel:WORD_1 src1_sel:DWORD
	v_mul_f16_sdwa v3, v28, v7 dst_sel:DWORD dst_unused:UNUSED_PAD src0_sel:WORD_1 src1_sel:DWORD
	v_fma_f16 v2, v28, v7, v2
	v_fma_f16 v1, v28, v1, -v3
	v_pack_b32_f16 v1, v2, v1
	ds_write2_b32 v25, v0, v1 offset0:88 offset1:110
	;; [unrolled: 17-line block ×4, first 2 shown]
	s_waitcnt lgkmcnt(0)
	s_barrier
	ds_read2_b32 v[0:1], v25 offset0:88 offset1:110
	ds_read2_b32 v[2:3], v25 offset0:132 offset1:154
	;; [unrolled: 1-line block ×3, first 2 shown]
	ds_read2_b32 v[6:7], v25 offset1:22
	s_waitcnt lgkmcnt(2)
	v_add_f16_e32 v11, v0, v2
	v_sub_f16_sdwa v12, v0, v2 dst_sel:DWORD dst_unused:UNUSED_PAD src0_sel:WORD_1 src1_sel:WORD_1
	s_waitcnt lgkmcnt(0)
	v_pk_add_f16 v9, v6, v4
	v_pk_add_f16 v15, v9, v0
	;; [unrolled: 1-line block ×4, first 2 shown]
	ds_read2_b32 v[9:10], v25 offset0:176 offset1:198
	v_pk_add_f16 v15, v15, v2
	v_sub_f16_e32 v13, v4, v0
	v_sub_f16_e32 v14, v0, v4
	v_add_f16_sdwa v16, v0, v2 dst_sel:DWORD dst_unused:UNUSED_PAD src0_sel:WORD_1 src1_sel:WORD_1
	s_waitcnt lgkmcnt(0)
	v_add_f16_e32 v42, v4, v9
	v_sub_f16_e32 v17, v0, v2
	v_sub_f16_sdwa v19, v4, v0 dst_sel:DWORD dst_unused:UNUSED_PAD src0_sel:WORD_1 src1_sel:WORD_1
	v_sub_f16_sdwa v0, v0, v4 dst_sel:DWORD dst_unused:UNUSED_PAD src0_sel:WORD_1 src1_sel:WORD_1
	;; [unrolled: 1-line block ×3, first 2 shown]
	v_sub_f16_e32 v43, v4, v9
	v_add_f16_sdwa v4, v4, v9 dst_sel:DWORD dst_unused:UNUSED_PAD src0_sel:WORD_1 src1_sel:WORD_1
	v_pk_add_f16 v18, v18, v3
	v_sub_f16_e32 v47, v9, v2
	v_sub_f16_e32 v48, v2, v9
	v_sub_f16_sdwa v49, v9, v2 dst_sel:DWORD dst_unused:UNUSED_PAD src0_sel:WORD_1 src1_sel:WORD_1
	v_sub_f16_sdwa v2, v2, v9 dst_sel:DWORD dst_unused:UNUSED_PAD src0_sel:WORD_1 src1_sel:WORD_1
	v_pk_add_f16 v9, v15, v9
	v_fma_f16 v15, v42, -0.5, v6
	v_add_f16_e32 v20, v1, v3
	v_sub_f16_sdwa v21, v1, v3 dst_sel:DWORD dst_unused:UNUSED_PAD src0_sel:WORD_1 src1_sel:WORD_1
	v_sub_f16_e32 v22, v5, v1
	v_sub_f16_e32 v37, v1, v5
	v_add_f16_sdwa v38, v1, v3 dst_sel:DWORD dst_unused:UNUSED_PAD src0_sel:WORD_1 src1_sel:WORD_1
	v_sub_f16_e32 v39, v1, v3
	v_sub_f16_sdwa v40, v5, v1 dst_sel:DWORD dst_unused:UNUSED_PAD src0_sel:WORD_1 src1_sel:WORD_1
	v_sub_f16_sdwa v1, v1, v5 dst_sel:DWORD dst_unused:UNUSED_PAD src0_sel:WORD_1 src1_sel:WORD_1
	;; [unrolled: 1-line block ×3, first 2 shown]
	v_add_f16_e32 v45, v5, v10
	v_sub_f16_e32 v46, v5, v10
	v_add_f16_sdwa v5, v5, v10 dst_sel:DWORD dst_unused:UNUSED_PAD src0_sel:WORD_1 src1_sel:WORD_1
	v_sub_f16_e32 v50, v10, v3
	v_sub_f16_e32 v51, v3, v10
	v_sub_f16_sdwa v52, v10, v3 dst_sel:DWORD dst_unused:UNUSED_PAD src0_sel:WORD_1 src1_sel:WORD_1
	v_sub_f16_sdwa v3, v3, v10 dst_sel:DWORD dst_unused:UNUSED_PAD src0_sel:WORD_1 src1_sel:WORD_1
	v_pk_add_f16 v10, v18, v10
	v_fma_f16 v18, v12, s3, v15
	v_fma_f16 v15, v12, s0, v15
	v_add_f16_e32 v0, v0, v2
	v_lshrrev_b32_e32 v2, 16, v6
	v_add_f16_e32 v14, v14, v48
	v_fma_f16 v18, v41, s1, v18
	v_fma_f16 v15, v41, s6, v15
	v_fma_f16 v4, v4, -0.5, v2
	v_fma_f16 v18, v14, s2, v18
	v_fma_f16 v14, v14, s2, v15
	;; [unrolled: 1-line block ×8, first 2 shown]
	v_add_f16_e32 v0, v37, v51
	v_fma_f16 v37, v45, -0.5, v7
	v_fma_f16 v6, v11, -0.5, v6
	;; [unrolled: 1-line block ×3, first 2 shown]
	v_lshrrev_b32_e32 v7, 16, v7
	v_add_f16_e32 v1, v1, v3
	v_fma_f16 v3, v5, -0.5, v7
	v_fma_f16 v5, v39, s0, v3
	v_fma_f16 v42, v21, s3, v37
	;; [unrolled: 1-line block ×11, first 2 shown]
	v_mul_f16_e32 v3, 0x3b9c, v5
	v_fma_f16 v0, v0, s2, v37
	v_fma_f16 v20, v42, s2, v3
	v_mul_f16_e32 v3, 0xbb9c, v42
	v_fma_f16 v5, v5, s2, v3
	v_mul_f16_e32 v3, 0x34f2, v0
	v_fma_f16 v42, v1, s0, -v3
	v_mul_f16_e32 v1, 0x34f2, v1
	v_fma_f16 v45, v0, s3, -v1
	v_add_f16_e32 v0, v14, v42
	v_add_f16_e32 v1, v4, v45
	v_pack_b32_f16 v1, v0, v1
	v_add_f16_e32 v0, v18, v20
	v_add_f16_e32 v3, v15, v5
	v_fma_f16 v16, v16, -0.5, v2
	v_fma_f16 v7, v38, -0.5, v7
	v_fma_f16 v2, v44, s0, v11
	v_pack_b32_f16 v0, v0, v3
	v_add_f16_e32 v22, v22, v50
	v_fma_f16 v2, v21, s1, v2
	v_fma_f16 v3, v46, s3, v7
	v_add_f16_e32 v38, v40, v52
	v_fma_f16 v2, v22, s2, v2
	v_fma_f16 v3, v39, s6, v3
	v_fma_f16 v3, v38, s2, v3
	v_mul_f16_e32 v37, 0x3a79, v2
	v_mul_f16_e32 v2, 0xb8b4, v2
	v_add_f16_e32 v13, v13, v47
	v_fma_f16 v47, v3, s7, v2
	v_mul_lo_u16_e32 v2, 10, v33
	v_fma_f16 v40, v3, s1, v37
	v_lshl_add_u32 v37, v2, 2, v35
	v_fma_f16 v2, v41, s0, v6
	v_fma_f16 v2, v12, s1, v2
	;; [unrolled: 1-line block ×4, first 2 shown]
	v_add_f16_e32 v19, v19, v49
	v_fma_f16 v2, v17, s6, v2
	v_fma_f16 v49, v19, s2, v2
	v_add_f16_e32 v2, v48, v40
	v_add_f16_e32 v3, v49, v47
	v_pack_b32_f16 v3, v2, v3
	v_pk_add_f16 v2, v9, v10
	s_barrier
	ds_write2_b64 v37, v[2:3], v[0:1] offset1:1
	v_fma_f16 v2, v44, s3, v11
	v_fma_f16 v2, v21, s6, v2
	;; [unrolled: 1-line block ×8, first 2 shown]
	v_mul_f16_e32 v6, 0x3a79, v2
	v_fma_f16 v0, v12, s6, v0
	v_fma_f16 v1, v17, s1, v1
	v_fma_f16 v6, v3, s1, -v6
	v_mul_f16_e32 v3, 0x3a79, v3
	v_fma_f16 v0, v13, s2, v0
	v_fma_f16 v1, v19, s2, v1
	v_fma_f16 v2, v2, s6, -v3
	v_sub_f16_e32 v3, v48, v40
	v_sub_f16_e32 v7, v18, v20
	v_add_f16_e32 v12, v0, v6
	v_sub_f16_e32 v6, v0, v6
	v_sub_f16_e32 v0, v49, v47
	v_add_f16_e32 v13, v1, v2
	v_sub_f16_e32 v5, v15, v5
	v_sub_f16_e32 v11, v14, v42
	;; [unrolled: 1-line block ×4, first 2 shown]
	v_pk_add_f16 v1, v9, v10 neg_lo:[0,1] neg_hi:[0,1]
	v_pack_b32_f16 v2, v3, v0
	v_pack_b32_f16 v3, v7, v5
	;; [unrolled: 1-line block ×3, first 2 shown]
	ds_write2_b64 v37, v[0:1], v[2:3] offset0:2 offset1:3
	v_pack_b32_f16 v1, v6, v14
	v_pack_b32_f16 v0, v11, v4
	s_movk_i32 s0, 0xcd
	ds_write_b64 v37, v[0:1] offset:32
	v_mul_lo_u16_sdwa v0, v33, s0 dst_sel:DWORD dst_unused:UNUSED_PAD src0_sel:BYTE_0 src1_sel:DWORD
	v_lshrrev_b16_e32 v2, 11, v0
	v_mul_lo_u16_e32 v0, 10, v2
	v_sub_u16_e32 v3, v33, v0
	v_mov_b32_e32 v0, 2
	v_lshlrev_b32_sdwa v1, v0, v3 dst_sel:DWORD dst_unused:UNUSED_PAD src0_sel:DWORD src1_sel:BYTE_0
	s_waitcnt lgkmcnt(0)
	s_barrier
	global_load_dword v38, v1, s[14:15]
	v_add_u16_e32 v1, 22, v33
	v_mul_lo_u16_sdwa v4, v1, s0 dst_sel:DWORD dst_unused:UNUSED_PAD src0_sel:BYTE_0 src1_sel:DWORD
	v_lshrrev_b16_e32 v9, 11, v4
	v_mul_lo_u16_e32 v4, 10, v9
	v_sub_u16_e32 v10, v1, v4
	v_lshlrev_b32_sdwa v1, v0, v10 dst_sel:DWORD dst_unused:UNUSED_PAD src0_sel:DWORD src1_sel:BYTE_0
	global_load_dword v39, v1, s[14:15]
	v_add_u16_e32 v1, 44, v33
	v_mul_lo_u16_sdwa v4, v1, s0 dst_sel:DWORD dst_unused:UNUSED_PAD src0_sel:BYTE_0 src1_sel:DWORD
	v_lshrrev_b16_e32 v13, 11, v4
	v_mul_lo_u16_e32 v4, 10, v13
	v_sub_u16_e32 v14, v1, v4
	v_lshlrev_b32_sdwa v1, v0, v14 dst_sel:DWORD dst_unused:UNUSED_PAD src0_sel:DWORD src1_sel:BYTE_0
	;; [unrolled: 7-line block ×4, first 2 shown]
	global_load_dword v42, v0, s[14:15]
	ds_read2_b32 v[0:1], v25 offset0:88 offset1:110
	v_mad_legacy_u16 v15, v2, 20, v3
	ds_read2_b32 v[2:3], v25 offset1:22
	v_and_b32_e32 v15, 0xff, v15
	v_lshl_add_u32 v43, v15, 2, v35
	s_waitcnt lgkmcnt(1)
	v_lshrrev_b32_e32 v4, 16, v1
	v_mad_legacy_u16 v9, v9, 20, v10
	s_load_dwordx2 s[2:3], s[4:5], 0x38
	s_waitcnt vmcnt(4)
	v_mul_f16_sdwa v5, v1, v38 dst_sel:DWORD dst_unused:UNUSED_PAD src0_sel:DWORD src1_sel:WORD_1
	v_fma_f16 v5, v4, v38, v5
	v_mul_f16_sdwa v4, v4, v38 dst_sel:DWORD dst_unused:UNUSED_PAD src0_sel:DWORD src1_sel:WORD_1
	v_fma_f16 v1, v1, v38, -v4
	s_waitcnt lgkmcnt(0)
	v_lshrrev_b32_e32 v4, 16, v2
	v_sub_f16_e32 v49, v4, v5
	v_sub_f16_e32 v12, v2, v1
	v_fma_f16 v11, v2, 2.0, -v12
	v_fma_f16 v48, v4, 2.0, -v49
	ds_read2_b32 v[1:2], v25 offset0:132 offset1:154
	ds_read2_b32 v[4:5], v25 offset0:44 offset1:66
	;; [unrolled: 1-line block ×3, first 2 shown]
	v_pack_b32_f16 v15, v11, v48
	v_pack_b32_f16 v16, v12, v49
	s_waitcnt lgkmcnt(2)
	v_lshrrev_b32_e32 v17, 16, v1
	s_waitcnt vmcnt(0) lgkmcnt(0)
	s_barrier
	ds_write2_b32 v43, v15, v16 offset1:10
	v_mul_f16_sdwa v15, v17, v39 dst_sel:DWORD dst_unused:UNUSED_PAD src0_sel:DWORD src1_sel:WORD_1
	v_fma_f16 v15, v1, v39, -v15
	v_sub_f16_e32 v16, v3, v15
	v_mul_f16_sdwa v1, v1, v39 dst_sel:DWORD dst_unused:UNUSED_PAD src0_sel:DWORD src1_sel:WORD_1
	v_fma_f16 v15, v3, 2.0, -v16
	v_lshrrev_b32_e32 v3, 16, v3
	v_fma_f16 v1, v17, v39, v1
	v_sub_f16_e32 v50, v3, v1
	v_fma_f16 v52, v3, 2.0, -v50
	v_and_b32_e32 v1, 0xff, v9
	v_lshl_add_u32 v44, v1, 2, v35
	v_pack_b32_f16 v1, v15, v52
	v_pack_b32_f16 v3, v16, v50
	ds_write2_b32 v44, v1, v3 offset1:10
	v_lshrrev_b32_e32 v1, 16, v2
	v_mul_f16_sdwa v3, v1, v40 dst_sel:DWORD dst_unused:UNUSED_PAD src0_sel:DWORD src1_sel:WORD_1
	v_fma_f16 v3, v2, v40, -v3
	v_mul_f16_sdwa v2, v2, v40 dst_sel:DWORD dst_unused:UNUSED_PAD src0_sel:DWORD src1_sel:WORD_1
	v_fma_f16 v1, v1, v40, v2
	v_lshrrev_b32_e32 v9, 16, v4
	v_mul_u32_u24_e32 v2, 20, v13
	v_sub_f16_e32 v57, v9, v1
	v_sub_f16_e32 v18, v4, v3
	v_add_u32_sdwa v2, v2, v14 dst_sel:DWORD dst_unused:UNUSED_PAD src0_sel:DWORD src1_sel:BYTE_0
	v_fma_f16 v17, v4, 2.0, -v18
	v_fma_f16 v56, v9, 2.0, -v57
	v_lshl_add_u32 v45, v2, 2, v35
	v_pack_b32_f16 v1, v17, v56
	v_pack_b32_f16 v2, v18, v57
	ds_write2_b32 v45, v1, v2 offset1:10
	v_lshrrev_b32_e32 v1, 16, v6
	v_mul_f16_sdwa v2, v1, v41 dst_sel:DWORD dst_unused:UNUSED_PAD src0_sel:DWORD src1_sel:WORD_1
	v_fma_f16 v2, v6, v41, -v2
	v_mul_f16_sdwa v3, v6, v41 dst_sel:DWORD dst_unused:UNUSED_PAD src0_sel:DWORD src1_sel:WORD_1
	v_sub_f16_e32 v20, v5, v2
	v_lshrrev_b32_e32 v2, 16, v5
	v_fma_f16 v1, v1, v41, v3
	v_mul_u32_u24_e32 v3, 20, v21
	v_sub_f16_e32 v59, v2, v1
	v_fma_f16 v19, v5, 2.0, -v20
	v_add_u32_sdwa v3, v3, v22 dst_sel:DWORD dst_unused:UNUSED_PAD src0_sel:DWORD src1_sel:BYTE_0
	v_fma_f16 v58, v2, 2.0, -v59
	v_lshl_add_u32 v46, v3, 2, v35
	v_pack_b32_f16 v1, v19, v58
	v_pack_b32_f16 v2, v20, v59
	ds_write2_b32 v46, v1, v2 offset1:10
	v_lshrrev_b32_e32 v1, 16, v7
	v_mul_f16_sdwa v2, v1, v42 dst_sel:DWORD dst_unused:UNUSED_PAD src0_sel:DWORD src1_sel:WORD_1
	v_fma_f16 v2, v7, v42, -v2
	v_sub_f16_e32 v22, v0, v2
	v_mul_f16_sdwa v2, v7, v42 dst_sel:DWORD dst_unused:UNUSED_PAD src0_sel:DWORD src1_sel:WORD_1
	v_fma_f16 v21, v0, 2.0, -v22
	v_lshrrev_b32_e32 v0, 16, v0
	v_fma_f16 v1, v1, v42, v2
	v_mul_u32_u24_e32 v2, 20, v47
	v_sub_f16_e32 v61, v0, v1
	v_add_u32_sdwa v2, v2, v51 dst_sel:DWORD dst_unused:UNUSED_PAD src0_sel:DWORD src1_sel:BYTE_0
	v_fma_f16 v60, v0, 2.0, -v61
	v_lshl_add_u32 v47, v2, 2, v35
	v_pack_b32_f16 v0, v21, v60
	v_pack_b32_f16 v1, v22, v61
	ds_write2_b32 v47, v0, v1 offset1:10
	v_mov_b32_e32 v0, s13
	v_add_co_u32_e32 v13, vcc, s12, v36
	v_addc_co_u32_e32 v14, vcc, 0, v0, vcc
	v_cmp_gt_u16_e32 vcc, 20, v33
	s_waitcnt lgkmcnt(0)
	s_barrier
	s_and_saveexec_b64 s[0:1], vcc
	s_cbranch_execz .LBB0_3
; %bb.2:
	ds_read2_b32 v[11:12], v25 offset1:20
	ds_read2_b32 v[15:16], v25 offset0:40 offset1:60
	ds_read2_b32 v[17:18], v25 offset0:80 offset1:100
	;; [unrolled: 1-line block ×4, first 2 shown]
	ds_read_b32 v62, v25 offset:800
	s_waitcnt lgkmcnt(5)
	v_lshrrev_b32_e32 v48, 16, v11
	v_lshrrev_b32_e32 v49, 16, v12
	s_waitcnt lgkmcnt(4)
	v_lshrrev_b32_e32 v52, 16, v15
	v_lshrrev_b32_e32 v50, 16, v16
	;; [unrolled: 3-line block ×5, first 2 shown]
	s_waitcnt lgkmcnt(0)
	v_lshrrev_b32_e32 v63, 16, v62
.LBB0_3:
	s_or_b64 exec, exec, s[0:1]
	v_subrev_u32_e32 v0, 20, v33
	v_cndmask_b32_e32 v0, v0, v33, vcc
	v_mul_hi_i32_i24_e32 v1, 40, v0
	v_mul_i32_i24_e32 v0, 40, v0
	v_mov_b32_e32 v2, s15
	v_add_co_u32_e64 v53, s[0:1], s14, v0
	v_addc_co_u32_e64 v54, s[0:1], v2, v1, s[0:1]
	global_load_dwordx4 v[0:3], v[53:54], off offset:40
	global_load_dwordx4 v[4:7], v[53:54], off offset:56
	global_load_dwordx2 v[9:10], v[53:54], off offset:72
	s_movk_i32 s4, 0x3abb
	s_movk_i32 s5, 0x36a6
	s_mov_b32 s6, 0xb08e
	s_mov_b32 s7, 0xb93d
	;; [unrolled: 1-line block ×8, first 2 shown]
	s_waitcnt vmcnt(2)
	v_mul_f16_sdwa v51, v49, v0 dst_sel:DWORD dst_unused:UNUSED_PAD src0_sel:DWORD src1_sel:WORD_1
	v_mul_f16_sdwa v53, v12, v0 dst_sel:DWORD dst_unused:UNUSED_PAD src0_sel:DWORD src1_sel:WORD_1
	;; [unrolled: 1-line block ×5, first 2 shown]
	s_waitcnt vmcnt(0)
	v_mul_f16_sdwa v77, v22, v9 dst_sel:DWORD dst_unused:UNUSED_PAD src0_sel:DWORD src1_sel:WORD_1
	v_mul_f16_sdwa v78, v63, v10 dst_sel:DWORD dst_unused:UNUSED_PAD src0_sel:DWORD src1_sel:WORD_1
	;; [unrolled: 1-line block ×14, first 2 shown]
	v_fma_f16 v51, v12, v0, -v51
	v_fma_f16 v12, v49, v0, v53
	v_fma_f16 v53, v15, v1, -v54
	v_fma_f16 v54, v16, v2, -v64
	v_fma_f16 v16, v50, v2, v65
	v_fma_f16 v50, v61, v9, v77
	v_fma_f16 v61, v62, v10, -v78
	v_mul_f16_sdwa v74, v60, v7 dst_sel:DWORD dst_unused:UNUSED_PAD src0_sel:DWORD src1_sel:WORD_1
	v_fma_f16 v15, v52, v1, v55
	v_fma_f16 v55, v17, v3, -v66
	v_fma_f16 v17, v56, v3, v67
	v_fma_f16 v56, v18, v4, -v68
	;; [unrolled: 2-line block ×4, first 2 shown]
	v_fma_f16 v20, v59, v6, v73
	v_fma_f16 v49, v60, v7, v75
	v_fma_f16 v60, v22, v9, -v76
	v_fma_f16 v52, v63, v10, v79
	v_sub_f16_e32 v73, v51, v61
	v_fma_f16 v59, v21, v7, -v74
	v_add_f16_e32 v86, v12, v52
	v_sub_f16_e32 v82, v12, v52
	v_sub_f16_e32 v74, v53, v60
	v_mul_f16_e32 v70, 0xb853, v73
	v_add_f16_e32 v66, v51, v61
	v_add_f16_e32 v87, v15, v50
	v_sub_f16_e32 v83, v15, v50
	v_sub_f16_e32 v75, v54, v59
	v_mul_f16_e32 v62, 0xb853, v82
	v_mul_f16_e32 v71, 0xbb47, v74
	v_fma_f16 v22, v86, s4, -v70
	v_add_f16_e32 v67, v53, v60
	v_add_f16_e32 v88, v16, v49
	v_sub_f16_e32 v84, v16, v49
	v_sub_f16_e32 v76, v55, v58
	v_mul_f16_e32 v63, 0xbb47, v83
	v_mul_f16_e32 v72, 0xbbeb, v75
	v_fma_f16 v21, v66, s4, v62
	v_fma_f16 v78, v87, s5, -v71
	v_add_f16_e32 v22, v48, v22
	v_add_f16_e32 v68, v54, v59
	;; [unrolled: 1-line block ×3, first 2 shown]
	v_sub_f16_e32 v85, v17, v20
	v_mul_f16_e32 v64, 0xbbeb, v84
	v_fma_f16 v77, v67, s5, v63
	v_fma_f16 v80, v88, s6, -v72
	v_add_f16_e32 v21, v11, v21
	v_add_f16_e32 v22, v78, v22
	v_mul_f16_e32 v78, 0xba0c, v76
	v_add_f16_e32 v69, v55, v58
	v_mul_f16_e32 v65, 0xba0c, v85
	v_fma_f16 v79, v68, s6, v64
	v_add_f16_e32 v21, v77, v21
	v_add_f16_e32 v22, v80, v22
	v_fma_f16 v77, v89, s7, -v78
	v_sub_f16_e32 v90, v18, v19
	v_fma_f16 v81, v69, s7, v65
	v_add_f16_e32 v21, v79, v21
	v_add_f16_e32 v22, v77, v22
	;; [unrolled: 1-line block ×3, first 2 shown]
	v_mul_f16_e32 v77, 0xb482, v90
	v_add_f16_e32 v21, v81, v21
	v_fma_f16 v79, v80, s14, v77
	v_sub_f16_e32 v81, v56, v57
	v_add_f16_e32 v21, v79, v21
	v_add_f16_e32 v91, v18, v19
	v_mul_f16_e32 v79, 0xb482, v81
	v_fma_f16 v92, v91, s14, -v79
	v_add_f16_e32 v22, v92, v22
	s_and_saveexec_b64 s[0:1], vcc
	s_cbranch_execz .LBB0_5
; %bb.4:
	v_mul_f16_e32 v102, 0x36a6, v86
	s_movk_i32 s20, 0x3b47
	v_fma_f16 v103, v73, s20, v102
	v_mul_f16_e32 v104, 0xb93d, v87
	s_movk_i32 s21, 0x3a0c
	v_add_f16_e32 v103, v48, v103
	v_fma_f16 v105, v74, s21, v104
	v_add_f16_e32 v103, v105, v103
	v_mul_f16_e32 v105, 0xbbad, v88
	v_fma_f16 v106, v75, s19, v105
	v_add_f16_e32 v103, v106, v103
	v_mul_f16_e32 v106, 0xb08e, v89
	;; [unrolled: 3-line block ×4, first 2 shown]
	v_fma_f16 v109, v66, s5, v108
	v_mul_f16_e32 v110, 0xba0c, v83
	v_add_f16_e32 v109, v11, v109
	v_fma_f16 v111, v67, s7, v110
	v_add_f16_e32 v109, v111, v109
	v_mul_f16_e32 v111, 0x3482, v84
	v_fma_f16 v112, v68, s14, v111
	v_add_f16_e32 v109, v112, v109
	v_mul_f16_e32 v112, 0x3beb, v85
	;; [unrolled: 3-line block ×3, first 2 shown]
	v_fma_f16 v114, v80, s4, v113
	s_movk_i32 s23, 0x3beb
	v_add_f16_e32 v109, v114, v109
	v_mul_f16_e32 v114, 0xb08e, v86
	v_fma_f16 v115, v73, s23, v114
	v_mul_f16_e32 v116, 0xbbad, v87
	v_add_f16_e32 v115, v48, v115
	v_fma_f16 v117, v74, s19, v116
	v_add_f16_e32 v115, v117, v115
	v_mul_f16_e32 v117, 0x36a6, v88
	v_fma_f16 v118, v75, s15, v117
	s_movk_i32 s24, 0x3853
	v_add_f16_e32 v115, v118, v115
	v_mul_f16_e32 v118, 0x3abb, v89
	v_fma_f16 v119, v76, s24, v118
	v_add_f16_e32 v115, v119, v115
	v_mul_f16_e32 v119, 0xb93d, v91
	v_fma_f16 v120, v81, s21, v119
	;; [unrolled: 3-line block ×3, first 2 shown]
	v_mul_f16_e32 v122, 0x3482, v83
	v_add_f16_e32 v121, v11, v121
	v_fma_f16 v123, v67, s14, v122
	v_add_f16_e32 v121, v123, v121
	v_mul_f16_e32 v123, 0x3b47, v84
	v_fma_f16 v124, v68, s5, v123
	v_add_f16_e32 v121, v124, v121
	v_mul_f16_e32 v124, 0xb853, v85
	;; [unrolled: 3-line block ×4, first 2 shown]
	v_fma_f16 v127, v73, s21, v126
	v_mul_f16_e32 v128, 0xb08e, v87
	v_add_f16_e32 v127, v48, v127
	v_fma_f16 v129, v74, s18, v128
	v_add_f16_e32 v127, v129, v127
	v_mul_f16_e32 v129, 0x3abb, v88
	v_fma_f16 v130, v75, s24, v129
	s_movk_i32 s22, 0x3482
	v_add_f16_e32 v127, v130, v127
	v_mul_f16_e32 v130, 0xbbad, v89
	v_fma_f16 v131, v76, s22, v130
	v_add_f16_e32 v127, v131, v127
	v_mul_f16_e32 v131, 0x36a6, v91
	v_fma_f16 v132, v81, s15, v131
	;; [unrolled: 3-line block ×3, first 2 shown]
	v_mul_f16_e32 v134, 0x3beb, v83
	v_add_f16_e32 v133, v11, v133
	v_fma_f16 v135, v67, s6, v134
	v_add_f16_e32 v133, v135, v133
	v_mul_f16_e32 v135, 0xb853, v84
	v_fma_f16 v136, v68, s4, v135
	v_add_f16_e32 v133, v136, v133
	v_mul_f16_e32 v136, 0xb482, v85
	;; [unrolled: 3-line block ×3, first 2 shown]
	v_mul_f16_e32 v93, 0x3abb, v86
	v_fma_f16 v138, v80, s5, v137
	v_mul_f16_e32 v86, 0xbbad, v86
	v_mul_f16_e32 v95, 0x36a6, v87
	v_add_f16_e32 v133, v138, v133
	v_fma_f16 v138, v73, s22, v86
	v_mul_f16_e32 v87, 0x3abb, v87
	v_mul_f16_e32 v97, 0xb08e, v88
	v_add_f16_e32 v138, v48, v138
	;; [unrolled: 4-line block ×4, first 2 shown]
	v_fma_f16 v139, v76, s15, v89
	v_mul_f16_e32 v91, 0xb08e, v91
	v_add_f16_e32 v138, v139, v138
	v_fma_f16 v139, v81, s23, v91
	v_mul_f16_e32 v82, 0xb482, v82
	v_add_f16_e32 v138, v139, v138
	v_fma_f16 v139, v66, s14, v82
	v_mul_f16_e32 v83, 0x3853, v83
	v_fma_f16 v82, v66, s14, -v82
	v_fma_f16 v140, v67, s4, v83
	v_mul_f16_e32 v84, 0xba0c, v84
	v_add_f16_e32 v82, v11, v82
	v_fma_f16 v83, v67, s4, -v83
	v_mul_f16_e32 v85, 0x3b47, v85
	v_add_f16_e32 v82, v83, v82
	v_fma_f16 v83, v68, s7, -v84
	;; [unrolled: 3-line block ×3, first 2 shown]
	v_add_f16_e32 v82, v83, v82
	v_fma_f16 v83, v80, s6, -v90
	v_add_f16_e32 v139, v11, v139
	v_add_f16_e32 v82, v83, v82
	v_fma_f16 v83, v73, s16, v126
	v_add_f16_e32 v139, v140, v139
	v_fma_f16 v140, v68, s7, v84
	;; [unrolled: 2-line block ×6, first 2 shown]
	v_add_f16_e32 v83, v84, v83
	v_fma_f16 v84, v66, s7, -v132
	v_add_f16_e32 v139, v140, v139
	v_fma_f16 v140, v69, s5, v85
	v_fma_f16 v86, v73, s19, v86
	v_add_f16_e32 v84, v11, v84
	v_fma_f16 v85, v67, s6, -v134
	v_add_f16_e32 v86, v48, v86
	v_fma_f16 v87, v74, s24, v87
	v_add_f16_e32 v84, v85, v84
	v_fma_f16 v85, v68, s4, -v135
	v_add_f16_e32 v86, v87, v86
	;; [unrolled: 4-line block ×4, first 2 shown]
	v_fma_f16 v87, v81, s18, v91
	v_add_f16_e32 v84, v85, v84
	v_fma_f16 v85, v73, s18, v114
	v_add_f16_e32 v86, v87, v86
	v_add_f16_e32 v85, v48, v85
	v_fma_f16 v87, v74, s22, v116
	v_add_f16_e32 v85, v87, v85
	v_fma_f16 v87, v75, s20, v117
	;; [unrolled: 2-line block ×3, first 2 shown]
	v_mul_f16_e32 v92, 0x3abb, v66
	v_add_f16_e32 v85, v87, v85
	v_fma_f16 v87, v81, s16, v119
	v_add_f16_e32 v85, v87, v85
	v_fma_f16 v87, v66, s6, -v120
	v_fma_f16 v66, v66, s5, -v108
	v_sub_f16_e32 v62, v92, v62
	v_add_f16_e32 v87, v11, v87
	v_add_f16_e32 v66, v11, v66
	;; [unrolled: 1-line block ×5, first 2 shown]
	v_mul_f16_e32 v94, 0x36a6, v67
	v_fma_f16 v88, v67, s14, -v122
	v_fma_f16 v67, v67, s7, -v110
	v_add_f16_e32 v11, v11, v53
	v_add_f16_e32 v12, v12, v15
	v_add_f16_e32 v66, v67, v66
	v_fma_f16 v67, v68, s14, -v111
	v_add_f16_e32 v11, v11, v54
	v_add_f16_e32 v12, v12, v16
	v_add_f16_e32 v66, v67, v66
	;; [unrolled: 4-line block ×3, first 2 shown]
	v_fma_f16 v67, v80, s4, -v113
	v_add_f16_e32 v11, v11, v56
	v_add_f16_e32 v12, v12, v18
	v_fma_f16 v73, v73, s15, v102
	v_add_f16_e32 v66, v67, v66
	v_add_f16_e32 v67, v70, v93
	;; [unrolled: 1-line block ×4, first 2 shown]
	v_mul_f16_e32 v96, 0xb08e, v68
	v_add_f16_e32 v87, v88, v87
	v_fma_f16 v88, v68, s5, -v123
	v_add_f16_e32 v73, v48, v73
	v_fma_f16 v74, v74, s16, v104
	v_add_f16_e32 v67, v48, v67
	v_add_f16_e32 v68, v71, v95
	v_sub_f16_e32 v63, v94, v63
	v_add_f16_e32 v11, v11, v58
	v_add_f16_e32 v12, v12, v20
	v_mul_f16_e32 v98, 0xb93d, v69
	v_add_f16_e32 v73, v74, v73
	v_fma_f16 v74, v75, s22, v105
	v_add_f16_e32 v67, v68, v67
	v_add_f16_e32 v68, v72, v97
	;; [unrolled: 1-line block ×3, first 2 shown]
	v_sub_f16_e32 v63, v96, v64
	v_add_f16_e32 v11, v11, v59
	v_add_f16_e32 v12, v12, v49
	v_mul_f16_e32 v100, 0xbbad, v80
	v_add_f16_e32 v73, v74, v73
	v_fma_f16 v74, v76, s23, v106
	v_add_f16_e32 v67, v68, v67
	v_add_f16_e32 v68, v78, v99
	;; [unrolled: 1-line block ×3, first 2 shown]
	v_sub_f16_e32 v63, v98, v65
	v_add_f16_e32 v11, v11, v60
	v_add_f16_e32 v12, v12, v50
	;; [unrolled: 1-line block ×3, first 2 shown]
	v_fma_f16 v88, v69, s4, -v124
	v_add_f16_e32 v73, v74, v73
	v_fma_f16 v74, v81, s24, v107
	v_add_f16_e32 v67, v68, v67
	v_add_f16_e32 v68, v79, v101
	;; [unrolled: 1-line block ×3, first 2 shown]
	v_sub_f16_e32 v63, v100, v77
	v_add_f16_e32 v11, v11, v61
	v_add_f16_e32 v12, v12, v52
	;; [unrolled: 1-line block ×3, first 2 shown]
	v_fma_f16 v88, v80, s7, -v125
	v_add_f16_e32 v73, v74, v73
	v_add_f16_e32 v67, v68, v67
	;; [unrolled: 1-line block ×3, first 2 shown]
	v_pack_b32_f16 v11, v11, v12
	v_add_f16_e32 v139, v140, v139
	v_fma_f16 v140, v80, s6, v90
	v_add_f16_e32 v87, v88, v87
	ds_write_b32 v25, v11
	v_lshl_add_u32 v11, v33, 2, v35
	v_pack_b32_f16 v12, v62, v67
	v_pack_b32_f16 v15, v66, v73
	v_add_f16_e32 v139, v140, v139
	ds_write2_b32 v11, v12, v15 offset0:20 offset1:40
	v_pack_b32_f16 v12, v87, v85
	v_pack_b32_f16 v15, v84, v83
	ds_write2_b32 v11, v12, v15 offset0:60 offset1:80
	v_pack_b32_f16 v12, v82, v86
	v_pack_b32_f16 v15, v139, v138
	;; [unrolled: 3-line block ×3, first 2 shown]
	s_mov_b32 s4, 0x5040100
	ds_write2_b32 v11, v12, v15 offset0:140 offset1:160
	v_pack_b32_f16 v12, v109, v103
	v_perm_b32 v15, v22, v21, s4
	ds_write2_b32 v11, v12, v15 offset0:180 offset1:200
.LBB0_5:
	s_or_b64 exec, exec, s[0:1]
	s_waitcnt lgkmcnt(0)
	s_barrier
	global_load_dword v48, v[13:14], off offset:880
	s_add_u32 s0, s12, 0x370
	s_addc_u32 s1, s13, 0
	global_load_dword v49, v36, s[0:1] offset:88
	global_load_dword v50, v36, s[0:1] offset:176
	;; [unrolled: 1-line block ×9, first 2 shown]
	ds_read2_b32 v[11:12], v25 offset1:22
	ds_read2_b32 v[13:14], v25 offset0:44 offset1:66
	ds_read2_b32 v[15:16], v25 offset0:88 offset1:110
	;; [unrolled: 1-line block ×4, first 2 shown]
	s_waitcnt lgkmcnt(4)
	v_lshrrev_b32_e32 v36, 16, v11
	v_lshrrev_b32_e32 v58, 16, v12
	s_waitcnt lgkmcnt(3)
	v_lshrrev_b32_e32 v59, 16, v13
	v_lshrrev_b32_e32 v60, 16, v14
	;; [unrolled: 3-line block ×5, first 2 shown]
	s_mov_b32 s0, 0xbb9c
	s_movk_i32 s5, 0x3b9c
	s_mov_b32 s1, 0xb8b4
	s_movk_i32 s6, 0x38b4
	s_movk_i32 s4, 0x34f2
	s_waitcnt vmcnt(6)
	v_mul_f16_sdwa v69, v60, v51 dst_sel:DWORD dst_unused:UNUSED_PAD src0_sel:DWORD src1_sel:WORD_1
	v_mul_f16_sdwa v70, v14, v51 dst_sel:DWORD dst_unused:UNUSED_PAD src0_sel:DWORD src1_sel:WORD_1
	s_waitcnt vmcnt(5)
	v_mul_f16_sdwa v71, v61, v52 dst_sel:DWORD dst_unused:UNUSED_PAD src0_sel:DWORD src1_sel:WORD_1
	v_mul_f16_sdwa v67, v36, v48 dst_sel:DWORD dst_unused:UNUSED_PAD src0_sel:DWORD src1_sel:WORD_1
	;; [unrolled: 1-line block ×3, first 2 shown]
	v_fma_f16 v11, v11, v48, -v67
	v_fma_f16 v36, v36, v48, v68
	v_pack_b32_f16 v11, v11, v36
	v_mul_f16_sdwa v36, v58, v49 dst_sel:DWORD dst_unused:UNUSED_PAD src0_sel:DWORD src1_sel:WORD_1
	v_mul_f16_sdwa v48, v12, v49 dst_sel:DWORD dst_unused:UNUSED_PAD src0_sel:DWORD src1_sel:WORD_1
	v_mul_f16_sdwa v67, v59, v50 dst_sel:DWORD dst_unused:UNUSED_PAD src0_sel:DWORD src1_sel:WORD_1
	v_mul_f16_sdwa v68, v13, v50 dst_sel:DWORD dst_unused:UNUSED_PAD src0_sel:DWORD src1_sel:WORD_1
	v_mul_f16_sdwa v72, v15, v52 dst_sel:DWORD dst_unused:UNUSED_PAD src0_sel:DWORD src1_sel:WORD_1
	s_waitcnt vmcnt(4)
	v_mul_f16_sdwa v73, v62, v53 dst_sel:DWORD dst_unused:UNUSED_PAD src0_sel:DWORD src1_sel:WORD_1
	v_mul_f16_sdwa v74, v16, v53 dst_sel:DWORD dst_unused:UNUSED_PAD src0_sel:DWORD src1_sel:WORD_1
	s_waitcnt vmcnt(3)
	v_mul_f16_sdwa v75, v63, v54 dst_sel:DWORD dst_unused:UNUSED_PAD src0_sel:DWORD src1_sel:WORD_1
	v_mul_f16_sdwa v76, v17, v54 dst_sel:DWORD dst_unused:UNUSED_PAD src0_sel:DWORD src1_sel:WORD_1
	;; [unrolled: 3-line block ×5, first 2 shown]
	v_fma_f16 v12, v12, v49, -v36
	v_fma_f16 v36, v58, v49, v48
	v_fma_f16 v13, v13, v50, -v67
	v_fma_f16 v48, v59, v50, v68
	;; [unrolled: 2-line block ×9, first 2 shown]
	v_pack_b32_f16 v12, v12, v36
	v_pack_b32_f16 v13, v13, v48
	;; [unrolled: 1-line block ×9, first 2 shown]
	ds_write2_b32 v25, v11, v12 offset1:22
	ds_write2_b32 v25, v13, v14 offset0:44 offset1:66
	ds_write2_b32 v25, v15, v16 offset0:88 offset1:110
	;; [unrolled: 1-line block ×4, first 2 shown]
	s_waitcnt lgkmcnt(0)
	s_barrier
	ds_read2_b32 v[11:12], v25 offset1:22
	ds_read2_b32 v[13:14], v25 offset0:88 offset1:110
	ds_read2_b32 v[15:16], v25 offset0:132 offset1:154
	;; [unrolled: 1-line block ×4, first 2 shown]
	s_waitcnt lgkmcnt(0)
	s_barrier
	v_add_f16_e32 v36, v13, v15
	v_fma_f16 v36, v36, -0.5, v11
	v_sub_f16_sdwa v48, v17, v19 dst_sel:DWORD dst_unused:UNUSED_PAD src0_sel:WORD_1 src1_sel:WORD_1
	v_fma_f16 v49, v48, s0, v36
	v_sub_f16_sdwa v50, v13, v15 dst_sel:DWORD dst_unused:UNUSED_PAD src0_sel:WORD_1 src1_sel:WORD_1
	v_sub_f16_e32 v51, v19, v15
	v_sub_f16_e32 v52, v17, v13
	v_fma_f16 v36, v48, s5, v36
	v_fma_f16 v49, v50, s1, v49
	v_add_f16_e32 v51, v52, v51
	v_fma_f16 v36, v50, s6, v36
	v_fma_f16 v49, v51, s4, v49
	;; [unrolled: 1-line block ×3, first 2 shown]
	v_add_f16_e32 v51, v17, v19
	v_fma_f16 v51, v51, -0.5, v11
	v_fma_f16 v52, v50, s5, v51
	v_sub_f16_e32 v53, v15, v19
	v_sub_f16_e32 v54, v13, v17
	v_fma_f16 v50, v50, s0, v51
	v_fma_f16 v52, v48, s1, v52
	v_add_f16_e32 v53, v54, v53
	v_fma_f16 v48, v48, s6, v50
	v_pk_add_f16 v50, v11, v17
	v_add_f16_sdwa v51, v13, v15 dst_sel:DWORD dst_unused:UNUSED_PAD src0_sel:WORD_1 src1_sel:WORD_1
	v_lshrrev_b32_e32 v11, 16, v11
	v_fma_f16 v52, v53, s4, v52
	v_fma_f16 v48, v53, s4, v48
	v_fma_f16 v51, v51, -0.5, v11
	v_sub_f16_e32 v53, v17, v19
	v_fma_f16 v54, v53, s5, v51
	v_sub_f16_e32 v55, v13, v15
	v_sub_f16_sdwa v56, v17, v13 dst_sel:DWORD dst_unused:UNUSED_PAD src0_sel:WORD_1 src1_sel:WORD_1
	v_sub_f16_sdwa v57, v19, v15 dst_sel:DWORD dst_unused:UNUSED_PAD src0_sel:WORD_1 src1_sel:WORD_1
	v_fma_f16 v51, v53, s0, v51
	v_fma_f16 v54, v55, s6, v54
	v_add_f16_e32 v56, v56, v57
	v_fma_f16 v51, v55, s1, v51
	v_fma_f16 v54, v56, s4, v54
	;; [unrolled: 1-line block ×3, first 2 shown]
	v_add_f16_sdwa v56, v17, v19 dst_sel:DWORD dst_unused:UNUSED_PAD src0_sel:WORD_1 src1_sel:WORD_1
	v_pk_add_f16 v50, v50, v13
	v_fma_f16 v11, v56, -0.5, v11
	v_pk_add_f16 v50, v50, v15
	v_fma_f16 v56, v55, s0, v11
	v_sub_f16_sdwa v13, v13, v17 dst_sel:DWORD dst_unused:UNUSED_PAD src0_sel:WORD_1 src1_sel:WORD_1
	v_sub_f16_sdwa v15, v15, v19 dst_sel:DWORD dst_unused:UNUSED_PAD src0_sel:WORD_1 src1_sel:WORD_1
	v_fma_f16 v11, v55, s5, v11
	v_fma_f16 v56, v53, s6, v56
	v_add_f16_e32 v13, v13, v15
	v_fma_f16 v11, v53, s1, v11
	v_fma_f16 v15, v13, s4, v56
	;; [unrolled: 1-line block ×3, first 2 shown]
	v_add_f16_e32 v11, v14, v16
	v_fma_f16 v11, v11, -0.5, v12
	v_sub_f16_sdwa v17, v18, v20 dst_sel:DWORD dst_unused:UNUSED_PAD src0_sel:WORD_1 src1_sel:WORD_1
	v_pk_add_f16 v50, v50, v19
	v_fma_f16 v19, v17, s0, v11
	v_sub_f16_sdwa v53, v14, v16 dst_sel:DWORD dst_unused:UNUSED_PAD src0_sel:WORD_1 src1_sel:WORD_1
	v_sub_f16_e32 v55, v20, v16
	v_sub_f16_e32 v56, v18, v14
	v_fma_f16 v11, v17, s5, v11
	v_fma_f16 v19, v53, s1, v19
	v_add_f16_e32 v55, v56, v55
	v_fma_f16 v11, v53, s6, v11
	v_fma_f16 v19, v55, s4, v19
	;; [unrolled: 1-line block ×3, first 2 shown]
	v_add_f16_e32 v11, v18, v20
	v_fma_f16 v11, v11, -0.5, v12
	v_fma_f16 v56, v53, s5, v11
	v_sub_f16_e32 v57, v16, v20
	v_sub_f16_e32 v58, v14, v18
	v_fma_f16 v11, v53, s0, v11
	v_add_f16_e32 v57, v58, v57
	v_fma_f16 v11, v17, s6, v11
	v_fma_f16 v56, v17, s1, v56
	;; [unrolled: 1-line block ×3, first 2 shown]
	v_pk_add_f16 v11, v12, v18
	v_pk_add_f16 v11, v11, v14
	;; [unrolled: 1-line block ×4, first 2 shown]
	v_add_f16_sdwa v11, v14, v16 dst_sel:DWORD dst_unused:UNUSED_PAD src0_sel:WORD_1 src1_sel:WORD_1
	v_lshrrev_b32_e32 v12, 16, v12
	v_fma_f16 v56, v57, s4, v56
	v_fma_f16 v11, v11, -0.5, v12
	v_sub_f16_e32 v57, v18, v20
	v_fma_f16 v58, v57, s5, v11
	v_sub_f16_e32 v59, v14, v16
	v_sub_f16_sdwa v60, v18, v14 dst_sel:DWORD dst_unused:UNUSED_PAD src0_sel:WORD_1 src1_sel:WORD_1
	v_sub_f16_sdwa v61, v20, v16 dst_sel:DWORD dst_unused:UNUSED_PAD src0_sel:WORD_1 src1_sel:WORD_1
	v_fma_f16 v11, v57, s0, v11
	v_fma_f16 v58, v59, s6, v58
	v_add_f16_e32 v60, v60, v61
	v_fma_f16 v11, v59, s1, v11
	v_fma_f16 v58, v60, s4, v58
	;; [unrolled: 1-line block ×3, first 2 shown]
	v_add_f16_sdwa v11, v18, v20 dst_sel:DWORD dst_unused:UNUSED_PAD src0_sel:WORD_1 src1_sel:WORD_1
	v_fma_f16 v11, v11, -0.5, v12
	v_fma_f16 v12, v59, s0, v11
	v_sub_f16_sdwa v14, v14, v18 dst_sel:DWORD dst_unused:UNUSED_PAD src0_sel:WORD_1 src1_sel:WORD_1
	v_sub_f16_sdwa v16, v16, v20 dst_sel:DWORD dst_unused:UNUSED_PAD src0_sel:WORD_1 src1_sel:WORD_1
	v_fma_f16 v11, v59, s5, v11
	v_fma_f16 v12, v57, s6, v12
	v_add_f16_e32 v14, v14, v16
	v_fma_f16 v11, v57, s1, v11
	v_fma_f16 v12, v14, s4, v12
	;; [unrolled: 1-line block ×3, first 2 shown]
	v_mul_f16_e32 v11, 0xb8b4, v58
	s_movk_i32 s0, 0x3a79
	v_fma_f16 v16, v19, s0, v11
	v_mul_f16_e32 v11, 0xbb9c, v12
	v_fma_f16 v20, v56, s4, v11
	v_mul_f16_e32 v11, 0xbb9c, v14
	s_mov_b32 s1, 0xb4f2
	v_mul_f16_e32 v19, 0x38b4, v19
	v_mul_f16_e32 v12, 0x34f2, v12
	;; [unrolled: 1-line block ×3, first 2 shown]
	v_fma_f16 v59, v17, s1, v11
	v_mul_f16_e32 v11, 0xb8b4, v60
	s_mov_b32 s1, 0xba79
	v_fma_f16 v19, v58, s0, v19
	v_fma_f16 v12, v56, s5, v12
	;; [unrolled: 1-line block ×3, first 2 shown]
	v_mul_f16_e32 v60, 0xba79, v60
	v_add_f16_e32 v18, v49, v16
	v_add_f16_e32 v57, v52, v20
	;; [unrolled: 1-line block ×3, first 2 shown]
	v_fma_f16 v62, v55, s1, v11
	v_add_f16_e32 v58, v54, v19
	v_add_f16_e32 v56, v15, v12
	;; [unrolled: 1-line block ×3, first 2 shown]
	v_fma_f16 v55, v55, s6, v60
	v_add_f16_e32 v63, v36, v62
	v_pk_add_f16 v11, v50, v53
	v_add_f16_e32 v60, v51, v55
	v_sub_f16_e32 v16, v49, v16
	v_sub_f16_e32 v20, v52, v20
	;; [unrolled: 1-line block ×5, first 2 shown]
	v_pack_b32_f16 v14, v61, v17
	v_pack_b32_f16 v13, v57, v56
	;; [unrolled: 1-line block ×3, first 2 shown]
	v_sub_f16_e32 v48, v48, v59
	v_sub_f16_e32 v36, v36, v62
	v_sub_f16_e32 v51, v51, v55
	ds_write2_b64 v37, v[11:12], v[13:14] offset1:1
	v_pk_add_f16 v12, v50, v53 neg_lo:[0,1] neg_hi:[0,1]
	v_pack_b32_f16 v14, v20, v15
	v_pack_b32_f16 v13, v16, v19
	v_pack_b32_f16 v11, v63, v60
	ds_write2_b64 v37, v[11:12], v[13:14] offset0:2 offset1:3
	v_pack_b32_f16 v12, v36, v51
	v_pack_b32_f16 v11, v48, v49
	ds_write_b64 v37, v[11:12] offset:32
	s_waitcnt lgkmcnt(0)
	s_barrier
	ds_read2_b32 v[13:14], v25 offset1:22
	ds_read2_b32 v[19:20], v25 offset0:88 offset1:110
	ds_read2_b32 v[11:12], v25 offset0:132 offset1:154
	;; [unrolled: 1-line block ×4, first 2 shown]
	s_waitcnt lgkmcnt(0)
	v_lshrrev_b32_e32 v17, 16, v13
	v_lshrrev_b32_e32 v18, 16, v20
	v_mul_f16_sdwa v56, v38, v18 dst_sel:DWORD dst_unused:UNUSED_PAD src0_sel:WORD_1 src1_sel:DWORD
	v_lshrrev_b32_e32 v36, 16, v11
	v_fma_f16 v56, v38, v20, v56
	v_mul_f16_sdwa v20, v38, v20 dst_sel:DWORD dst_unused:UNUSED_PAD src0_sel:WORD_1 src1_sel:DWORD
	v_fma_f16 v18, v38, v18, -v20
	v_mul_f16_sdwa v20, v39, v36 dst_sel:DWORD dst_unused:UNUSED_PAD src0_sel:WORD_1 src1_sel:DWORD
	v_lshrrev_b32_e32 v48, 16, v12
	v_fma_f16 v20, v39, v11, v20
	v_mul_f16_sdwa v11, v39, v11 dst_sel:DWORD dst_unused:UNUSED_PAD src0_sel:WORD_1 src1_sel:DWORD
	v_fma_f16 v38, v39, v36, -v11
	;; [unrolled: 5-line block ×3, first 2 shown]
	v_mul_f16_sdwa v11, v41, v53 dst_sel:DWORD dst_unused:UNUSED_PAD src0_sel:WORD_1 src1_sel:DWORD
	v_lshrrev_b32_e32 v55, 16, v16
	v_fma_f16 v58, v41, v15, v11
	v_mul_f16_sdwa v11, v41, v15 dst_sel:DWORD dst_unused:UNUSED_PAD src0_sel:WORD_1 src1_sel:DWORD
	v_lshrrev_b32_e32 v37, 16, v14
	v_fma_f16 v15, v41, v53, -v11
	v_mul_f16_sdwa v11, v42, v55 dst_sel:DWORD dst_unused:UNUSED_PAD src0_sel:WORD_1 src1_sel:DWORD
	v_lshrrev_b32_e32 v51, 16, v49
	v_lshrrev_b32_e32 v52, 16, v50
	v_fma_f16 v53, v42, v16, v11
	v_mul_f16_sdwa v11, v42, v16 dst_sel:DWORD dst_unused:UNUSED_PAD src0_sel:WORD_1 src1_sel:DWORD
	v_sub_f16_e32 v12, v13, v56
	v_sub_f16_e32 v48, v17, v18
	v_sub_f16_e32 v39, v37, v38
	v_fma_f16 v55, v42, v55, -v11
	v_fma_f16 v11, v13, 2.0, -v12
	v_fma_f16 v36, v17, 2.0, -v48
	v_sub_f16_e32 v18, v14, v20
	v_fma_f16 v41, v37, 2.0, -v39
	v_sub_f16_e32 v37, v51, v40
	v_sub_f16_e32 v42, v52, v15
	v_fma_f16 v17, v14, 2.0, -v18
	v_sub_f16_e32 v14, v49, v57
	v_fma_f16 v38, v51, 2.0, -v37
	v_fma_f16 v40, v52, 2.0, -v42
	v_pack_b32_f16 v51, v11, v36
	v_pack_b32_f16 v52, v12, v48
	v_lshrrev_b32_e32 v54, 16, v19
	v_fma_f16 v13, v49, 2.0, -v14
	v_sub_f16_e32 v16, v50, v58
	s_barrier
	ds_write2_b32 v43, v51, v52 offset1:10
	v_pack_b32_f16 v43, v17, v41
	v_pack_b32_f16 v51, v18, v39
	v_fma_f16 v15, v50, 2.0, -v16
	v_sub_f16_e32 v20, v19, v53
	v_sub_f16_e32 v50, v54, v55
	ds_write2_b32 v44, v43, v51 offset1:10
	v_pack_b32_f16 v43, v13, v38
	v_pack_b32_f16 v44, v14, v37
	v_fma_f16 v19, v19, 2.0, -v20
	v_fma_f16 v49, v54, 2.0, -v50
	ds_write2_b32 v45, v43, v44 offset1:10
	v_pack_b32_f16 v43, v15, v40
	v_pack_b32_f16 v44, v16, v42
	ds_write2_b32 v46, v43, v44 offset1:10
	v_pack_b32_f16 v43, v19, v49
	v_pack_b32_f16 v44, v20, v50
	ds_write2_b32 v47, v43, v44 offset1:10
	s_waitcnt lgkmcnt(0)
	s_barrier
	s_and_saveexec_b64 s[0:1], vcc
	s_cbranch_execz .LBB0_7
; %bb.6:
	ds_read2_b32 v[11:12], v25 offset1:20
	ds_read2_b32 v[17:18], v25 offset0:40 offset1:60
	ds_read2_b32 v[13:14], v25 offset0:80 offset1:100
	;; [unrolled: 1-line block ×4, first 2 shown]
	ds_read_b32 v21, v25 offset:800
	s_waitcnt lgkmcnt(5)
	v_lshrrev_b32_e32 v36, 16, v11
	v_lshrrev_b32_e32 v48, 16, v12
	s_waitcnt lgkmcnt(4)
	v_lshrrev_b32_e32 v41, 16, v17
	v_lshrrev_b32_e32 v39, 16, v18
	;; [unrolled: 3-line block ×5, first 2 shown]
	s_waitcnt lgkmcnt(0)
	v_lshrrev_b32_e32 v22, 16, v21
.LBB0_7:
	s_or_b64 exec, exec, s[0:1]
	s_and_saveexec_b64 s[0:1], vcc
	s_cbranch_execz .LBB0_9
; %bb.8:
	v_mul_f16_sdwa v44, v10, v22 dst_sel:DWORD dst_unused:UNUSED_PAD src0_sel:WORD_1 src1_sel:DWORD
	v_mul_f16_sdwa v43, v0, v48 dst_sel:DWORD dst_unused:UNUSED_PAD src0_sel:WORD_1 src1_sel:DWORD
	v_fma_f16 v44, v10, v21, v44
	v_mul_f16_sdwa v21, v10, v21 dst_sel:DWORD dst_unused:UNUSED_PAD src0_sel:WORD_1 src1_sel:DWORD
	v_fma_f16 v43, v0, v12, v43
	v_fma_f16 v10, v10, v22, -v21
	v_mul_f16_sdwa v12, v0, v12 dst_sel:DWORD dst_unused:UNUSED_PAD src0_sel:WORD_1 src1_sel:DWORD
	v_mul_f16_sdwa v22, v1, v41 dst_sel:DWORD dst_unused:UNUSED_PAD src0_sel:WORD_1 src1_sel:DWORD
	;; [unrolled: 1-line block ×3, first 2 shown]
	v_sub_f16_e32 v45, v43, v44
	v_fma_f16 v0, v0, v48, -v12
	v_fma_f16 v22, v1, v17, v22
	v_fma_f16 v47, v9, v20, v47
	v_mul_f16_sdwa v20, v9, v20 dst_sel:DWORD dst_unused:UNUSED_PAD src0_sel:WORD_1 src1_sel:DWORD
	v_mul_f16_sdwa v17, v1, v17 dst_sel:DWORD dst_unused:UNUSED_PAD src0_sel:WORD_1 src1_sel:DWORD
	v_mul_f16_e32 v46, 0xbb47, v45
	v_add_f16_e32 v12, v10, v0
	s_movk_i32 s4, 0x36a6
	v_sub_f16_e32 v48, v22, v47
	v_fma_f16 v9, v9, v50, -v20
	v_fma_f16 v1, v1, v41, -v17
	v_fma_f16 v21, v12, s4, v46
	v_mul_f16_e32 v51, 0xba0c, v48
	v_add_f16_e32 v17, v9, v1
	s_mov_b32 s6, 0xb93d
	v_add_f16_e32 v21, v36, v21
	v_fma_f16 v20, v17, s6, v51
	v_add_f16_e32 v20, v20, v21
	v_mul_f16_sdwa v21, v2, v39 dst_sel:DWORD dst_unused:UNUSED_PAD src0_sel:WORD_1 src1_sel:DWORD
	v_mul_f16_sdwa v41, v7, v49 dst_sel:DWORD dst_unused:UNUSED_PAD src0_sel:WORD_1 src1_sel:DWORD
	v_fma_f16 v21, v2, v18, v21
	v_fma_f16 v41, v7, v19, v41
	v_mul_f16_sdwa v19, v7, v19 dst_sel:DWORD dst_unused:UNUSED_PAD src0_sel:WORD_1 src1_sel:DWORD
	v_mul_f16_sdwa v18, v2, v18 dst_sel:DWORD dst_unused:UNUSED_PAD src0_sel:WORD_1 src1_sel:DWORD
	v_sub_f16_e32 v50, v21, v41
	v_fma_f16 v7, v7, v49, -v19
	v_fma_f16 v2, v2, v39, -v18
	v_mul_f16_e32 v52, 0x3482, v50
	v_add_f16_e32 v18, v7, v2
	s_mov_b32 s12, 0xbbad
	v_fma_f16 v19, v18, s12, v52
	v_add_f16_e32 v19, v19, v20
	v_mul_f16_sdwa v20, v3, v38 dst_sel:DWORD dst_unused:UNUSED_PAD src0_sel:WORD_1 src1_sel:DWORD
	v_mul_f16_sdwa v39, v6, v42 dst_sel:DWORD dst_unused:UNUSED_PAD src0_sel:WORD_1 src1_sel:DWORD
	v_fma_f16 v20, v3, v13, v20
	v_fma_f16 v39, v6, v16, v39
	v_mul_f16_sdwa v16, v6, v16 dst_sel:DWORD dst_unused:UNUSED_PAD src0_sel:WORD_1 src1_sel:DWORD
	v_mul_f16_sdwa v13, v3, v13 dst_sel:DWORD dst_unused:UNUSED_PAD src0_sel:WORD_1 src1_sel:DWORD
	v_sub_f16_e32 v49, v20, v39
	v_fma_f16 v6, v6, v42, -v16
	v_fma_f16 v3, v3, v38, -v13
	v_mul_f16_e32 v53, 0x3beb, v49
	v_add_f16_e32 v13, v6, v3
	s_mov_b32 s13, 0xb08e
	v_fma_f16 v16, v13, s13, v53
	v_add_f16_e32 v16, v16, v19
	v_mul_f16_sdwa v19, v4, v37 dst_sel:DWORD dst_unused:UNUSED_PAD src0_sel:WORD_1 src1_sel:DWORD
	v_mul_f16_sdwa v38, v5, v40 dst_sel:DWORD dst_unused:UNUSED_PAD src0_sel:WORD_1 src1_sel:DWORD
	v_fma_f16 v19, v4, v14, v19
	v_fma_f16 v38, v5, v15, v38
	v_mul_f16_sdwa v15, v5, v15 dst_sel:DWORD dst_unused:UNUSED_PAD src0_sel:WORD_1 src1_sel:DWORD
	v_mul_f16_sdwa v14, v4, v14 dst_sel:DWORD dst_unused:UNUSED_PAD src0_sel:WORD_1 src1_sel:DWORD
	v_sub_f16_e32 v42, v19, v38
	v_fma_f16 v5, v5, v40, -v15
	v_fma_f16 v4, v4, v37, -v14
	v_mul_f16_e32 v54, 0x3853, v42
	v_add_f16_e32 v14, v5, v4
	s_movk_i32 s14, 0x3abb
	v_fma_f16 v15, v14, s14, v54
	v_sub_f16_e32 v37, v0, v10
	v_add_f16_e32 v15, v15, v16
	v_add_f16_e32 v16, v44, v43
	v_mul_f16_e32 v40, 0xbb47, v37
	v_sub_f16_e32 v57, v1, v9
	v_fma_f16 v55, v16, s4, -v40
	v_add_f16_e32 v56, v47, v22
	v_mul_f16_e32 v58, 0xba0c, v57
	v_add_f16_e32 v55, v11, v55
	v_fma_f16 v59, v56, s6, -v58
	v_sub_f16_e32 v60, v2, v7
	v_add_f16_e32 v55, v59, v55
	v_add_f16_e32 v59, v41, v21
	v_mul_f16_e32 v61, 0x3482, v60
	v_fma_f16 v62, v59, s12, -v61
	v_sub_f16_e32 v63, v3, v6
	v_add_f16_e32 v55, v62, v55
	v_add_f16_e32 v62, v39, v20
	v_mul_f16_e32 v64, 0x3beb, v63
	;; [unrolled: 5-line block ×3, first 2 shown]
	v_fma_f16 v68, v65, s14, -v67
	v_add_f16_e32 v55, v68, v55
	v_mul_f16_e32 v68, 0xbbeb, v45
	v_fma_f16 v69, v12, s13, v68
	v_mul_f16_e32 v70, 0x3482, v48
	v_add_f16_e32 v69, v36, v69
	v_fma_f16 v71, v17, s12, v70
	v_add_f16_e32 v69, v71, v69
	v_mul_f16_e32 v71, 0x3b47, v50
	v_fma_f16 v72, v18, s4, v71
	v_add_f16_e32 v69, v72, v69
	v_mul_f16_e32 v72, 0xb853, v49
	;; [unrolled: 3-line block ×4, first 2 shown]
	v_fma_f16 v75, v16, s13, -v74
	v_mul_f16_e32 v76, 0x3482, v57
	v_add_f16_e32 v75, v11, v75
	v_fma_f16 v77, v56, s12, -v76
	v_add_f16_e32 v75, v77, v75
	v_mul_f16_e32 v77, 0x3b47, v60
	v_fma_f16 v78, v59, s4, -v77
	v_add_f16_e32 v75, v78, v75
	v_mul_f16_e32 v78, 0xb853, v63
	;; [unrolled: 3-line block ×4, first 2 shown]
	v_fma_f16 v81, v12, s6, v80
	v_mul_f16_e32 v82, 0x3beb, v48
	v_add_f16_e32 v81, v36, v81
	v_fma_f16 v83, v17, s13, v82
	v_add_f16_e32 v81, v83, v81
	v_mul_f16_e32 v83, 0xb853, v50
	v_fma_f16 v84, v18, s14, v83
	v_add_f16_e32 v81, v84, v81
	v_mul_f16_e32 v84, 0xb482, v49
	;; [unrolled: 3-line block ×4, first 2 shown]
	v_fma_f16 v87, v16, s6, -v86
	v_mul_f16_e32 v88, 0x3beb, v57
	v_add_f16_e32 v87, v11, v87
	v_fma_f16 v89, v56, s13, -v88
	v_add_f16_e32 v87, v89, v87
	v_mul_f16_e32 v89, 0xb853, v60
	v_fma_f16 v90, v59, s14, -v89
	v_add_f16_e32 v87, v90, v87
	v_mul_f16_e32 v90, 0xb482, v63
	v_fma_f16 v46, v12, s4, -v46
	v_fma_f16 v91, v62, s12, -v90
	v_add_f16_e32 v46, v36, v46
	v_fma_f16 v51, v17, s6, -v51
	v_add_f16_e32 v87, v91, v87
	v_mul_f16_e32 v91, 0x3b47, v66
	v_add_f16_e32 v46, v51, v46
	v_fma_f16 v51, v18, s12, -v52
	v_fma_f16 v92, v65, s4, -v91
	v_add_f16_e32 v46, v51, v46
	v_fma_f16 v51, v13, s13, -v53
	v_add_f16_e32 v87, v92, v87
	v_mul_f16_e32 v92, 0xb482, v45
	v_add_f16_e32 v46, v51, v46
	v_fma_f16 v51, v14, s14, -v54
	v_fma_f16 v40, v16, s4, v40
	v_fma_f16 v93, v12, s12, v92
	v_mul_f16_e32 v94, 0x3853, v48
	v_add_f16_e32 v46, v51, v46
	v_add_f16_e32 v40, v11, v40
	v_fma_f16 v51, v56, s6, v58
	v_add_f16_e32 v93, v36, v93
	v_fma_f16 v95, v17, s14, v94
	;; [unrolled: 2-line block ×3, first 2 shown]
	v_add_f16_e32 v93, v95, v93
	v_mul_f16_e32 v95, 0xba0c, v50
	v_add_f16_e32 v40, v51, v40
	v_fma_f16 v51, v62, s13, v64
	s_movk_i32 s19, 0x3853
	v_fma_f16 v96, v18, s6, v95
	v_fma_f16 v92, v12, s12, -v92
	v_fma_f16 v80, v12, s6, -v80
	v_fma_f16 v68, v12, s13, -v68
	v_add_f16_e32 v40, v51, v40
	v_fma_f16 v51, v65, s14, v67
	v_mul_f16_e32 v12, 0x3abb, v12
	s_movk_i32 s20, 0x3b47
	v_add_f16_e32 v93, v96, v93
	v_mul_f16_e32 v96, 0x3b47, v49
	v_add_f16_e32 v92, v36, v92
	v_fma_f16 v94, v17, s14, -v94
	v_add_f16_e32 v80, v36, v80
	v_fma_f16 v82, v17, s13, -v82
	;; [unrolled: 2-line block ×3, first 2 shown]
	v_add_f16_e32 v40, v51, v40
	v_fma_f16 v51, v45, s19, v12
	v_mul_f16_e32 v17, 0x36a6, v17
	s_movk_i32 s16, 0x3beb
	v_fma_f16 v97, v13, s4, v96
	v_add_f16_e32 v92, v94, v92
	v_fma_f16 v94, v18, s6, -v95
	v_add_f16_e32 v80, v82, v80
	v_fma_f16 v82, v18, s14, -v83
	;; [unrolled: 2-line block ×3, first 2 shown]
	v_add_f16_e32 v51, v36, v51
	v_fma_f16 v52, v48, s20, v17
	v_mul_f16_e32 v18, 0xb08e, v18
	v_add_f16_e32 v93, v97, v93
	v_mul_f16_e32 v97, 0xbbeb, v42
	v_add_f16_e32 v92, v94, v92
	v_fma_f16 v94, v13, s4, -v96
	v_add_f16_e32 v80, v82, v80
	v_fma_f16 v82, v13, s12, -v84
	;; [unrolled: 2-line block ×3, first 2 shown]
	v_add_f16_e32 v51, v52, v51
	v_fma_f16 v52, v50, s16, v18
	v_mul_f16_e32 v13, 0xb93d, v13
	s_movk_i32 s16, 0x3a0c
	s_movk_i32 s15, 0x3482
	s_mov_b32 s18, 0xb853
	v_fma_f16 v98, v14, s13, v97
	v_add_f16_e32 v92, v94, v92
	v_fma_f16 v94, v14, s13, -v97
	v_add_f16_e32 v80, v82, v80
	v_fma_f16 v82, v14, s4, -v85
	;; [unrolled: 2-line block ×3, first 2 shown]
	v_add_f16_e32 v51, v52, v51
	v_fma_f16 v52, v49, s16, v13
	v_mul_f16_e32 v14, 0xbbad, v14
	v_add_f16_e32 v43, v11, v43
	v_add_f16_e32 v0, v0, v36
	s_mov_b32 s5, 0xbb47
	v_add_f16_e32 v93, v98, v93
	v_mul_f16_e32 v98, 0xb482, v37
	v_add_f16_e32 v51, v52, v51
	v_fma_f16 v52, v42, s15, v14
	v_mul_f16_e32 v37, 0xb853, v37
	v_add_f16_e32 v22, v22, v43
	v_add_f16_e32 v0, v1, v0
	v_fma_f16 v1, v45, s18, v12
	s_mov_b32 s17, 0xbbeb
	v_add_f16_e32 v51, v52, v51
	v_fma_f16 v52, v16, s14, v37
	v_mul_f16_e32 v53, 0xbb47, v57
	v_add_f16_e32 v21, v21, v22
	v_add_f16_e32 v0, v2, v0
	;; [unrolled: 1-line block ×3, first 2 shown]
	v_fma_f16 v2, v48, s5, v17
	s_mov_b32 s7, 0xba0c
	v_add_f16_e32 v52, v11, v52
	v_fma_f16 v54, v56, s4, v53
	v_add_f16_e32 v20, v20, v21
	v_add_f16_e32 v0, v3, v0
	;; [unrolled: 1-line block ×3, first 2 shown]
	v_fma_f16 v2, v50, s17, v18
	s_mov_b32 s21, 0xb482
	v_fma_f16 v99, v16, s12, -v98
	v_mul_f16_e32 v100, 0x3853, v57
	v_add_f16_e32 v52, v54, v52
	v_mul_f16_e32 v54, 0xbbeb, v60
	v_add_f16_e32 v19, v19, v20
	v_add_f16_e32 v0, v4, v0
	;; [unrolled: 1-line block ×3, first 2 shown]
	v_fma_f16 v2, v49, s7, v13
	v_add_f16_e32 v99, v11, v99
	v_fma_f16 v101, v56, s14, -v100
	v_fma_f16 v57, v59, s13, v54
	v_add_f16_e32 v19, v38, v19
	v_add_f16_e32 v0, v5, v0
	;; [unrolled: 1-line block ×3, first 2 shown]
	v_fma_f16 v2, v42, s21, v14
	v_add_f16_e32 v99, v101, v99
	v_mul_f16_e32 v101, 0xba0c, v60
	v_add_f16_e32 v80, v82, v80
	v_fma_f16 v82, v16, s6, v86
	v_add_f16_e32 v68, v70, v68
	v_fma_f16 v70, v16, s13, v74
	v_add_f16_e32 v52, v57, v52
	v_mul_f16_e32 v57, 0xba0c, v63
	v_add_f16_e32 v19, v39, v19
	v_add_f16_e32 v0, v6, v0
	;; [unrolled: 1-line block ×3, first 2 shown]
	v_fma_f16 v2, v16, s14, -v37
	v_fma_f16 v102, v59, s6, -v101
	v_add_f16_e32 v92, v94, v92
	v_fma_f16 v94, v16, s12, v98
	v_add_f16_e32 v82, v11, v82
	v_fma_f16 v83, v56, s13, v88
	;; [unrolled: 2-line block ×3, first 2 shown]
	v_fma_f16 v58, v62, s6, v57
	v_add_f16_e32 v19, v41, v19
	v_add_f16_e32 v0, v7, v0
	;; [unrolled: 1-line block ×3, first 2 shown]
	v_fma_f16 v3, v56, s4, -v53
	v_add_f16_e32 v99, v102, v99
	v_mul_f16_e32 v102, 0x3b47, v63
	v_add_f16_e32 v94, v11, v94
	v_fma_f16 v95, v56, s14, v100
	v_add_f16_e32 v82, v83, v82
	v_fma_f16 v83, v59, s14, v89
	;; [unrolled: 2-line block ×3, first 2 shown]
	v_add_f16_e32 v52, v58, v52
	v_mul_f16_e32 v58, 0xb482, v66
	v_add_f16_e32 v19, v47, v19
	v_add_f16_e32 v0, v9, v0
	;; [unrolled: 1-line block ×3, first 2 shown]
	v_fma_f16 v3, v59, s13, -v54
	v_fma_f16 v103, v62, s4, -v102
	v_add_f16_e32 v94, v95, v94
	v_fma_f16 v95, v59, s6, v101
	v_add_f16_e32 v82, v83, v82
	v_fma_f16 v83, v62, s12, v90
	;; [unrolled: 2-line block ×3, first 2 shown]
	v_fma_f16 v60, v65, s12, v58
	v_add_f16_e32 v19, v44, v19
	v_add_f16_e32 v0, v10, v0
	v_add_f16_e32 v2, v3, v2
	v_fma_f16 v3, v62, s6, -v57
	v_add_f16_e32 v99, v103, v99
	v_mul_f16_e32 v103, 0xbbeb, v66
	v_add_f16_e32 v94, v95, v94
	v_fma_f16 v95, v62, s4, v102
	v_add_f16_e32 v82, v83, v82
	v_fma_f16 v83, v65, s4, v91
	;; [unrolled: 2-line block ×3, first 2 shown]
	v_add_f16_e32 v52, v60, v52
	v_add_f16_e32 v2, v3, v2
	v_fma_f16 v3, v65, s12, -v58
	v_pack_b32_f16 v0, v19, v0
	v_fma_f16 v104, v65, s13, -v103
	v_add_f16_e32 v94, v95, v94
	v_fma_f16 v95, v65, s13, v103
	v_add_f16_e32 v82, v83, v82
	v_add_f16_e32 v70, v71, v70
	;; [unrolled: 1-line block ×3, first 2 shown]
	ds_write_b32 v25, v0
	v_lshl_add_u32 v0, v33, 2, v35
	v_pack_b32_f16 v3, v52, v51
	v_pack_b32_f16 v4, v40, v46
	v_add_f16_e32 v99, v104, v99
	v_add_f16_e32 v94, v95, v94
	ds_write2_b32 v0, v3, v4 offset0:20 offset1:40
	v_pack_b32_f16 v3, v70, v68
	v_pack_b32_f16 v4, v82, v80
	ds_write2_b32 v0, v3, v4 offset0:60 offset1:80
	v_pack_b32_f16 v3, v94, v92
	v_pack_b32_f16 v4, v99, v93
	;; [unrolled: 3-line block ×4, first 2 shown]
	ds_write2_b32 v0, v3, v1 offset0:180 offset1:200
.LBB0_9:
	s_or_b64 exec, exec, s[0:1]
	s_waitcnt lgkmcnt(0)
	s_barrier
	ds_read2_b32 v[0:1], v25 offset1:22
	s_mov_b32 s4, 0x29e4129e
	s_mov_b32 s5, 0x3f729e41
	v_mad_u64_u32 v[4:5], s[0:1], s10, v8, 0
	s_waitcnt lgkmcnt(0)
	v_lshrrev_b32_e32 v7, 16, v0
	v_mul_f16_sdwa v2, v34, v7 dst_sel:DWORD dst_unused:UNUSED_PAD src0_sel:WORD_1 src1_sel:DWORD
	v_fma_f16 v2, v34, v0, v2
	v_cvt_f32_f16_e32 v2, v2
	s_movk_i32 s6, 0x1ff
	v_mad_u64_u32 v[5:6], s[0:1], s11, v8, v[5:6]
	v_cvt_f64_f32_e32 v[2:3], v2
	s_movk_i32 s7, 0xffe
	v_mul_f16_sdwa v0, v34, v0 dst_sel:DWORD dst_unused:UNUSED_PAD src0_sel:WORD_1 src1_sel:DWORD
	v_fma_f16 v0, v34, v7, -v0
	v_mul_f64 v[2:3], v[2:3], s[4:5]
	v_cvt_f32_f16_e32 v7, v0
	v_mov_b32_e32 v0, 0x7c00
	s_movk_i32 s10, 0x40f
	s_mov_b32 s11, 0x8000
	v_lshrrev_b32_e32 v11, 16, v1
	v_and_or_b32 v2, v3, s6, v2
	v_cmp_ne_u32_e32 vcc, 0, v2
	v_lshrrev_b32_e32 v6, 8, v3
	v_bfe_u32 v8, v3, 20, 11
	v_cndmask_b32_e64 v2, 0, 1, vcc
	v_sub_u32_e32 v9, 0x3f1, v8
	v_and_or_b32 v2, v6, s7, v2
	v_or_b32_e32 v6, 0x1000, v2
	v_med3_i32 v9, v9, 0, 13
	v_lshrrev_b32_e32 v10, v9, v6
	v_lshlrev_b32_e32 v9, v9, v10
	v_cmp_ne_u32_e32 vcc, v9, v6
	v_cndmask_b32_e64 v6, 0, 1, vcc
	v_add_u32_e32 v8, 0xfffffc10, v8
	v_or_b32_e32 v6, v10, v6
	v_lshl_or_b32 v9, v8, 12, v2
	v_cmp_gt_i32_e32 vcc, 1, v8
	v_cndmask_b32_e32 v6, v9, v6, vcc
	v_and_b32_e32 v9, 7, v6
	v_cmp_lt_i32_e32 vcc, 5, v9
	v_cmp_eq_u32_e64 s[0:1], 3, v9
	v_lshrrev_b32_e32 v6, 2, v6
	s_or_b64 vcc, s[0:1], vcc
	v_addc_co_u32_e32 v9, vcc, 0, v6, vcc
	v_cvt_f64_f32_e32 v[6:7], v7
	v_cmp_gt_i32_e32 vcc, 31, v8
	v_cndmask_b32_e32 v9, v0, v9, vcc
	v_cmp_ne_u32_e32 vcc, 0, v2
	v_mul_f64 v[6:7], v[6:7], s[4:5]
	v_cndmask_b32_e64 v2, 0, 1, vcc
	v_lshl_or_b32 v2, v2, 9, v0
	v_cmp_eq_u32_e32 vcc, s10, v8
	v_cndmask_b32_e32 v2, v9, v2, vcc
	v_lshrrev_b32_e32 v3, 16, v3
	v_and_or_b32 v8, v3, s11, v2
	v_and_b32_e32 v8, 0xffff, v8
	v_and_or_b32 v2, v7, s6, v6
	v_cmp_ne_u32_e32 vcc, 0, v2
	v_cndmask_b32_e64 v2, 0, 1, vcc
	v_lshrrev_b32_e32 v3, 8, v7
	v_bfe_u32 v6, v7, 20, 11
	v_and_or_b32 v2, v3, s7, v2
	v_sub_u32_e32 v9, 0x3f1, v6
	v_or_b32_e32 v3, 0x1000, v2
	v_med3_i32 v9, v9, 0, 13
	v_lshrrev_b32_e32 v10, v9, v3
	v_lshlrev_b32_e32 v9, v9, v10
	v_cmp_ne_u32_e32 vcc, v9, v3
	v_cndmask_b32_e64 v3, 0, 1, vcc
	v_add_u32_e32 v6, 0xfffffc10, v6
	v_or_b32_e32 v3, v10, v3
	v_lshl_or_b32 v9, v6, 12, v2
	v_cmp_gt_i32_e32 vcc, 1, v6
	v_cndmask_b32_e32 v3, v9, v3, vcc
	v_and_b32_e32 v9, 7, v3
	v_cmp_lt_i32_e32 vcc, 5, v9
	v_cmp_eq_u32_e64 s[0:1], 3, v9
	v_lshrrev_b32_e32 v3, 2, v3
	s_or_b64 vcc, s[0:1], vcc
	v_addc_co_u32_e32 v3, vcc, 0, v3, vcc
	v_cmp_gt_i32_e32 vcc, 31, v6
	v_cndmask_b32_e32 v9, v0, v3, vcc
	v_cmp_ne_u32_e32 vcc, 0, v2
	v_cndmask_b32_e64 v2, 0, 1, vcc
	v_lshl_or_b32 v10, v2, 9, v0
	v_mad_u64_u32 v[2:3], s[0:1], s8, v33, 0
	v_cmp_eq_u32_e32 vcc, s10, v6
	v_cndmask_b32_e32 v9, v9, v10, vcc
	v_lshrrev_b32_e32 v10, 16, v7
	v_mad_u64_u32 v[6:7], s[0:1], s9, v33, v[3:4]
	v_mul_f16_sdwa v3, v32, v11 dst_sel:DWORD dst_unused:UNUSED_PAD src0_sel:WORD_1 src1_sel:DWORD
	v_fma_f16 v3, v32, v1, v3
	v_cvt_f32_f16_e32 v7, v3
	v_mov_b32_e32 v3, v6
	v_lshlrev_b64 v[4:5], 2, v[4:5]
	v_and_or_b32 v9, v10, s11, v9
	v_cvt_f64_f32_e32 v[6:7], v7
	v_lshl_or_b32 v8, v9, 16, v8
	v_mov_b32_e32 v9, s3
	v_add_co_u32_e32 v4, vcc, s2, v4
	v_mul_f64 v[6:7], v[6:7], s[4:5]
	v_lshlrev_b64 v[2:3], 2, v[2:3]
	v_addc_co_u32_e32 v5, vcc, v9, v5, vcc
	v_add_co_u32_e32 v2, vcc, v4, v2
	v_addc_co_u32_e32 v3, vcc, v5, v3, vcc
	v_and_or_b32 v4, v7, s6, v6
	v_cmp_ne_u32_e32 vcc, 0, v4
	v_cndmask_b32_e64 v4, 0, 1, vcc
	v_lshrrev_b32_e32 v5, 8, v7
	v_and_or_b32 v6, v5, s7, v4
	v_bfe_u32 v5, v7, 20, 11
	global_store_dword v[2:3], v8, off
	v_sub_u32_e32 v8, 0x3f1, v5
	v_or_b32_e32 v4, 0x1000, v6
	v_med3_i32 v8, v8, 0, 13
	v_lshrrev_b32_e32 v9, v8, v4
	v_lshlrev_b32_e32 v8, v8, v9
	v_mul_f16_sdwa v1, v32, v1 dst_sel:DWORD dst_unused:UNUSED_PAD src0_sel:WORD_1 src1_sel:DWORD
	v_cmp_ne_u32_e32 vcc, v8, v4
	v_fma_f16 v1, v32, v11, -v1
	v_cndmask_b32_e64 v4, 0, 1, vcc
	v_add_u32_e32 v8, 0xfffffc10, v5
	v_cvt_f32_f16_e32 v1, v1
	v_or_b32_e32 v4, v9, v4
	v_lshl_or_b32 v5, v8, 12, v6
	v_cmp_gt_i32_e32 vcc, 1, v8
	v_cndmask_b32_e32 v4, v5, v4, vcc
	v_and_b32_e32 v5, 7, v4
	v_cmp_lt_i32_e32 vcc, 5, v5
	v_cmp_eq_u32_e64 s[0:1], 3, v5
	v_lshrrev_b32_e32 v9, 2, v4
	v_cvt_f64_f32_e32 v[4:5], v1
	s_or_b64 vcc, s[0:1], vcc
	v_addc_co_u32_e32 v1, vcc, 0, v9, vcc
	v_mul_f64 v[4:5], v[4:5], s[4:5]
	v_cmp_gt_i32_e32 vcc, 31, v8
	v_cndmask_b32_e32 v1, v0, v1, vcc
	v_cmp_ne_u32_e32 vcc, 0, v6
	v_cndmask_b32_e64 v6, 0, 1, vcc
	v_lshl_or_b32 v6, v6, 9, v0
	v_cmp_eq_u32_e32 vcc, s10, v8
	v_cndmask_b32_e32 v1, v1, v6, vcc
	v_and_or_b32 v4, v5, s6, v4
	v_lshrrev_b32_e32 v6, 16, v7
	v_cmp_ne_u32_e32 vcc, 0, v4
	v_and_or_b32 v1, v6, s11, v1
	v_cndmask_b32_e64 v4, 0, 1, vcc
	v_lshrrev_b32_e32 v6, 8, v5
	v_bfe_u32 v7, v5, 20, 11
	v_and_or_b32 v4, v6, s7, v4
	v_sub_u32_e32 v8, 0x3f1, v7
	v_or_b32_e32 v6, 0x1000, v4
	v_med3_i32 v8, v8, 0, 13
	v_lshrrev_b32_e32 v9, v8, v6
	v_lshlrev_b32_e32 v8, v8, v9
	v_cmp_ne_u32_e32 vcc, v8, v6
	v_cndmask_b32_e64 v6, 0, 1, vcc
	v_add_u32_e32 v8, 0xfffffc10, v7
	v_or_b32_e32 v6, v9, v6
	v_lshl_or_b32 v7, v8, 12, v4
	v_cmp_gt_i32_e32 vcc, 1, v8
	v_cndmask_b32_e32 v6, v7, v6, vcc
	v_and_b32_e32 v7, 7, v6
	v_cmp_lt_i32_e32 vcc, 5, v7
	v_cmp_eq_u32_e64 s[0:1], 3, v7
	v_lshrrev_b32_e32 v6, 2, v6
	s_or_b64 vcc, s[0:1], vcc
	v_addc_co_u32_e32 v6, vcc, 0, v6, vcc
	v_cmp_gt_i32_e32 vcc, 31, v8
	v_cndmask_b32_e32 v9, v0, v6, vcc
	ds_read2_b32 v[6:7], v25 offset0:44 offset1:66
	v_cmp_ne_u32_e32 vcc, 0, v4
	v_cndmask_b32_e64 v4, 0, 1, vcc
	v_lshl_or_b32 v4, v4, 9, v0
	v_cmp_eq_u32_e32 vcc, s10, v8
	s_waitcnt lgkmcnt(0)
	v_lshrrev_b32_e32 v8, 16, v6
	v_cndmask_b32_e32 v4, v9, v4, vcc
	v_mul_f16_sdwa v9, v31, v8 dst_sel:DWORD dst_unused:UNUSED_PAD src0_sel:WORD_1 src1_sel:DWORD
	v_fma_f16 v9, v31, v6, v9
	v_cvt_f32_f16_e32 v9, v9
	v_lshrrev_b32_e32 v5, 16, v5
	v_and_or_b32 v4, v5, s11, v4
	v_and_b32_e32 v1, 0xffff, v1
	v_lshl_or_b32 v10, v4, 16, v1
	v_cvt_f64_f32_e32 v[4:5], v9
	s_mul_i32 s0, s9, 0x58
	s_mul_hi_u32 s2, s8, 0x58
	s_add_i32 s2, s2, s0
	v_mul_f64 v[4:5], v[4:5], s[4:5]
	s_mul_i32 s3, s8, 0x58
	v_mov_b32_e32 v9, s2
	v_add_co_u32_e32 v1, vcc, s3, v2
	v_addc_co_u32_e32 v2, vcc, v3, v9, vcc
	global_store_dword v[1:2], v10, off
	v_and_or_b32 v3, v5, s6, v4
	v_cmp_ne_u32_e32 vcc, 0, v3
	v_cndmask_b32_e64 v3, 0, 1, vcc
	v_lshrrev_b32_e32 v4, 8, v5
	v_and_or_b32 v9, v4, s7, v3
	v_bfe_u32 v4, v5, 20, 11
	v_sub_u32_e32 v10, 0x3f1, v4
	v_or_b32_e32 v3, 0x1000, v9
	v_med3_i32 v10, v10, 0, 13
	v_lshrrev_b32_e32 v11, v10, v3
	v_lshlrev_b32_e32 v10, v10, v11
	v_mul_f16_sdwa v6, v31, v6 dst_sel:DWORD dst_unused:UNUSED_PAD src0_sel:WORD_1 src1_sel:DWORD
	v_cmp_ne_u32_e32 vcc, v10, v3
	v_fma_f16 v6, v31, v8, -v6
	v_cndmask_b32_e64 v3, 0, 1, vcc
	v_add_u32_e32 v10, 0xfffffc10, v4
	v_cvt_f32_f16_e32 v6, v6
	v_or_b32_e32 v3, v11, v3
	v_lshl_or_b32 v4, v10, 12, v9
	v_cmp_gt_i32_e32 vcc, 1, v10
	v_cndmask_b32_e32 v3, v4, v3, vcc
	v_and_b32_e32 v4, 7, v3
	v_cmp_lt_i32_e32 vcc, 5, v4
	v_cmp_eq_u32_e64 s[0:1], 3, v4
	v_lshrrev_b32_e32 v8, 2, v3
	v_cvt_f64_f32_e32 v[3:4], v6
	s_or_b64 vcc, s[0:1], vcc
	v_addc_co_u32_e32 v6, vcc, 0, v8, vcc
	v_mul_f64 v[3:4], v[3:4], s[4:5]
	v_cmp_gt_i32_e32 vcc, 31, v10
	v_cndmask_b32_e32 v6, v0, v6, vcc
	v_cmp_ne_u32_e32 vcc, 0, v9
	v_cndmask_b32_e64 v8, 0, 1, vcc
	v_lshl_or_b32 v8, v8, 9, v0
	v_cmp_eq_u32_e32 vcc, s10, v10
	v_cndmask_b32_e32 v6, v6, v8, vcc
	v_and_or_b32 v3, v4, s6, v3
	v_lshrrev_b32_e32 v5, 16, v5
	v_cmp_ne_u32_e32 vcc, 0, v3
	v_and_or_b32 v8, v5, s11, v6
	v_cndmask_b32_e64 v3, 0, 1, vcc
	v_lshrrev_b32_e32 v5, 8, v4
	v_bfe_u32 v6, v4, 20, 11
	v_and_or_b32 v3, v5, s7, v3
	v_sub_u32_e32 v9, 0x3f1, v6
	v_or_b32_e32 v5, 0x1000, v3
	v_med3_i32 v9, v9, 0, 13
	v_lshrrev_b32_e32 v10, v9, v5
	v_lshlrev_b32_e32 v9, v9, v10
	v_cmp_ne_u32_e32 vcc, v9, v5
	v_cndmask_b32_e64 v5, 0, 1, vcc
	v_add_u32_e32 v6, 0xfffffc10, v6
	v_or_b32_e32 v5, v10, v5
	v_lshl_or_b32 v9, v6, 12, v3
	v_cmp_gt_i32_e32 vcc, 1, v6
	v_cndmask_b32_e32 v5, v9, v5, vcc
	v_and_b32_e32 v9, 7, v5
	v_cmp_lt_i32_e32 vcc, 5, v9
	v_cmp_eq_u32_e64 s[0:1], 3, v9
	v_lshrrev_b32_e32 v9, 16, v7
	v_lshrrev_b32_e32 v5, 2, v5
	s_or_b64 vcc, s[0:1], vcc
	v_mul_f16_sdwa v10, v30, v9 dst_sel:DWORD dst_unused:UNUSED_PAD src0_sel:WORD_1 src1_sel:DWORD
	v_addc_co_u32_e32 v5, vcc, 0, v5, vcc
	v_fma_f16 v10, v30, v7, v10
	v_cmp_gt_i32_e32 vcc, 31, v6
	v_cvt_f32_f16_e32 v10, v10
	v_cndmask_b32_e32 v5, v0, v5, vcc
	v_cmp_ne_u32_e32 vcc, 0, v3
	v_cndmask_b32_e64 v3, 0, 1, vcc
	v_lshl_or_b32 v3, v3, 9, v0
	v_cmp_eq_u32_e32 vcc, s10, v6
	v_cndmask_b32_e32 v3, v5, v3, vcc
	v_cvt_f64_f32_e32 v[5:6], v10
	v_lshrrev_b32_e32 v4, 16, v4
	v_and_or_b32 v10, v4, s11, v3
	v_add_co_u32_e32 v1, vcc, s3, v1
	v_mul_f64 v[3:4], v[5:6], s[4:5]
	v_mov_b32_e32 v6, s2
	v_and_b32_e32 v8, 0xffff, v8
	v_addc_co_u32_e32 v2, vcc, v2, v6, vcc
	v_lshl_or_b32 v5, v10, 16, v8
	global_store_dword v[1:2], v5, off
	v_mul_f16_sdwa v7, v30, v7 dst_sel:DWORD dst_unused:UNUSED_PAD src0_sel:WORD_1 src1_sel:DWORD
	v_and_or_b32 v3, v4, s6, v3
	v_cmp_ne_u32_e32 vcc, 0, v3
	v_cndmask_b32_e64 v3, 0, 1, vcc
	v_lshrrev_b32_e32 v5, 8, v4
	v_bfe_u32 v6, v4, 20, 11
	v_and_or_b32 v3, v5, s7, v3
	v_sub_u32_e32 v8, 0x3f1, v6
	v_or_b32_e32 v5, 0x1000, v3
	v_med3_i32 v8, v8, 0, 13
	v_lshrrev_b32_e32 v10, v8, v5
	v_lshlrev_b32_e32 v8, v8, v10
	v_cmp_ne_u32_e32 vcc, v8, v5
	v_fma_f16 v7, v30, v9, -v7
	v_cndmask_b32_e64 v5, 0, 1, vcc
	v_add_u32_e32 v8, 0xfffffc10, v6
	v_cvt_f32_f16_e32 v7, v7
	v_or_b32_e32 v5, v10, v5
	v_lshl_or_b32 v6, v8, 12, v3
	v_cmp_gt_i32_e32 vcc, 1, v8
	v_cndmask_b32_e32 v5, v6, v5, vcc
	v_and_b32_e32 v6, 7, v5
	v_cmp_lt_i32_e32 vcc, 5, v6
	v_cmp_eq_u32_e64 s[0:1], 3, v6
	v_lshrrev_b32_e32 v9, 2, v5
	v_cvt_f64_f32_e32 v[5:6], v7
	s_or_b64 vcc, s[0:1], vcc
	v_addc_co_u32_e32 v7, vcc, 0, v9, vcc
	v_mul_f64 v[5:6], v[5:6], s[4:5]
	v_cmp_gt_i32_e32 vcc, 31, v8
	v_cndmask_b32_e32 v7, v0, v7, vcc
	v_cmp_ne_u32_e32 vcc, 0, v3
	v_cndmask_b32_e64 v3, 0, 1, vcc
	v_lshl_or_b32 v3, v3, 9, v0
	v_cmp_eq_u32_e32 vcc, s10, v8
	v_cndmask_b32_e32 v3, v7, v3, vcc
	v_lshrrev_b32_e32 v4, 16, v4
	v_and_or_b32 v9, v4, s11, v3
	v_and_or_b32 v3, v6, s6, v5
	v_cmp_ne_u32_e32 vcc, 0, v3
	v_cndmask_b32_e64 v3, 0, 1, vcc
	v_lshrrev_b32_e32 v4, 8, v6
	v_and_or_b32 v5, v4, s7, v3
	v_bfe_u32 v4, v6, 20, 11
	v_sub_u32_e32 v7, 0x3f1, v4
	v_or_b32_e32 v3, 0x1000, v5
	v_med3_i32 v7, v7, 0, 13
	v_lshrrev_b32_e32 v8, v7, v3
	v_lshlrev_b32_e32 v7, v7, v8
	v_cmp_ne_u32_e32 vcc, v7, v3
	v_cndmask_b32_e64 v3, 0, 1, vcc
	v_add_u32_e32 v7, 0xfffffc10, v4
	v_or_b32_e32 v3, v8, v3
	v_lshl_or_b32 v4, v7, 12, v5
	v_cmp_gt_i32_e32 vcc, 1, v7
	v_cndmask_b32_e32 v3, v4, v3, vcc
	v_and_b32_e32 v4, 7, v3
	v_cmp_lt_i32_e32 vcc, 5, v4
	v_cmp_eq_u32_e64 s[0:1], 3, v4
	v_lshrrev_b32_e32 v3, 2, v3
	s_or_b64 vcc, s[0:1], vcc
	v_addc_co_u32_e32 v8, vcc, 0, v3, vcc
	ds_read2_b32 v[3:4], v25 offset0:88 offset1:110
	v_cmp_gt_i32_e32 vcc, 31, v7
	v_cndmask_b32_e32 v8, v0, v8, vcc
	v_cmp_ne_u32_e32 vcc, 0, v5
	v_cndmask_b32_e64 v5, 0, 1, vcc
	s_waitcnt lgkmcnt(0)
	v_lshrrev_b32_e32 v10, 16, v3
	v_mul_f16_sdwa v11, v29, v10 dst_sel:DWORD dst_unused:UNUSED_PAD src0_sel:WORD_1 src1_sel:DWORD
	v_fma_f16 v11, v29, v3, v11
	v_cvt_f32_f16_e32 v11, v11
	v_lshl_or_b32 v5, v5, 9, v0
	v_cmp_eq_u32_e32 vcc, s10, v7
	v_cndmask_b32_e32 v5, v8, v5, vcc
	v_cvt_f64_f32_e32 v[7:8], v11
	v_lshrrev_b32_e32 v6, 16, v6
	v_and_or_b32 v11, v6, s11, v5
	v_add_co_u32_e32 v1, vcc, s3, v1
	v_mul_f64 v[5:6], v[7:8], s[4:5]
	v_mov_b32_e32 v8, s2
	v_and_b32_e32 v9, 0xffff, v9
	v_addc_co_u32_e32 v2, vcc, v2, v8, vcc
	v_lshl_or_b32 v7, v11, 16, v9
	global_store_dword v[1:2], v7, off
	v_mul_f16_sdwa v3, v29, v3 dst_sel:DWORD dst_unused:UNUSED_PAD src0_sel:WORD_1 src1_sel:DWORD
	v_and_or_b32 v5, v6, s6, v5
	v_cmp_ne_u32_e32 vcc, 0, v5
	v_cndmask_b32_e64 v5, 0, 1, vcc
	v_lshrrev_b32_e32 v7, 8, v6
	v_bfe_u32 v8, v6, 20, 11
	v_and_or_b32 v5, v7, s7, v5
	v_sub_u32_e32 v9, 0x3f1, v8
	v_or_b32_e32 v7, 0x1000, v5
	v_med3_i32 v9, v9, 0, 13
	v_lshrrev_b32_e32 v11, v9, v7
	v_lshlrev_b32_e32 v9, v9, v11
	v_cmp_ne_u32_e32 vcc, v9, v7
	v_fma_f16 v3, v29, v10, -v3
	v_cndmask_b32_e64 v7, 0, 1, vcc
	v_add_u32_e32 v9, 0xfffffc10, v8
	v_cvt_f32_f16_e32 v3, v3
	v_or_b32_e32 v7, v11, v7
	v_lshl_or_b32 v8, v9, 12, v5
	v_cmp_gt_i32_e32 vcc, 1, v9
	v_cndmask_b32_e32 v7, v8, v7, vcc
	v_and_b32_e32 v8, 7, v7
	v_cmp_lt_i32_e32 vcc, 5, v8
	v_cmp_eq_u32_e64 s[0:1], 3, v8
	v_lshrrev_b32_e32 v10, 2, v7
	v_cvt_f64_f32_e32 v[7:8], v3
	s_or_b64 vcc, s[0:1], vcc
	v_addc_co_u32_e32 v3, vcc, 0, v10, vcc
	v_mul_f64 v[7:8], v[7:8], s[4:5]
	v_cmp_gt_i32_e32 vcc, 31, v9
	v_cndmask_b32_e32 v3, v0, v3, vcc
	v_cmp_ne_u32_e32 vcc, 0, v5
	v_cndmask_b32_e64 v5, 0, 1, vcc
	v_lshl_or_b32 v5, v5, 9, v0
	v_cmp_eq_u32_e32 vcc, s10, v9
	v_cndmask_b32_e32 v3, v3, v5, vcc
	v_lshrrev_b32_e32 v5, 16, v6
	v_and_or_b32 v3, v5, s11, v3
	v_and_or_b32 v5, v8, s6, v7
	v_cmp_ne_u32_e32 vcc, 0, v5
	v_cndmask_b32_e64 v5, 0, 1, vcc
	v_lshrrev_b32_e32 v6, 8, v8
	v_bfe_u32 v7, v8, 20, 11
	v_and_or_b32 v5, v6, s7, v5
	v_sub_u32_e32 v9, 0x3f1, v7
	v_or_b32_e32 v6, 0x1000, v5
	v_med3_i32 v9, v9, 0, 13
	v_lshrrev_b32_e32 v10, v9, v6
	v_lshlrev_b32_e32 v9, v9, v10
	v_cmp_ne_u32_e32 vcc, v9, v6
	v_cndmask_b32_e64 v6, 0, 1, vcc
	v_add_u32_e32 v7, 0xfffffc10, v7
	v_or_b32_e32 v6, v10, v6
	v_lshl_or_b32 v9, v7, 12, v5
	v_cmp_gt_i32_e32 vcc, 1, v7
	v_cndmask_b32_e32 v6, v9, v6, vcc
	v_and_b32_e32 v9, 7, v6
	v_cmp_lt_i32_e32 vcc, 5, v9
	v_cmp_eq_u32_e64 s[0:1], 3, v9
	v_lshrrev_b32_e32 v9, 16, v4
	v_lshrrev_b32_e32 v6, 2, v6
	s_or_b64 vcc, s[0:1], vcc
	v_mul_f16_sdwa v10, v28, v9 dst_sel:DWORD dst_unused:UNUSED_PAD src0_sel:WORD_1 src1_sel:DWORD
	v_addc_co_u32_e32 v6, vcc, 0, v6, vcc
	v_fma_f16 v10, v28, v4, v10
	v_cmp_gt_i32_e32 vcc, 31, v7
	v_cvt_f32_f16_e32 v10, v10
	v_cndmask_b32_e32 v6, v0, v6, vcc
	v_cmp_ne_u32_e32 vcc, 0, v5
	v_cndmask_b32_e64 v5, 0, 1, vcc
	v_lshl_or_b32 v5, v5, 9, v0
	v_cmp_eq_u32_e32 vcc, s10, v7
	v_cndmask_b32_e32 v7, v6, v5, vcc
	v_cvt_f64_f32_e32 v[5:6], v10
	v_lshrrev_b32_e32 v8, 16, v8
	v_and_or_b32 v7, v8, s11, v7
	v_and_b32_e32 v3, 0xffff, v3
	v_mul_f64 v[5:6], v[5:6], s[4:5]
	v_lshl_or_b32 v3, v7, 16, v3
	v_mov_b32_e32 v7, s2
	v_add_co_u32_e32 v1, vcc, s3, v1
	v_addc_co_u32_e32 v2, vcc, v2, v7, vcc
	global_store_dword v[1:2], v3, off
	v_and_or_b32 v3, v6, s6, v5
	v_cmp_ne_u32_e32 vcc, 0, v3
	v_cndmask_b32_e64 v3, 0, 1, vcc
	v_lshrrev_b32_e32 v5, 8, v6
	v_bfe_u32 v7, v6, 20, 11
	v_and_or_b32 v5, v5, s7, v3
	v_sub_u32_e32 v8, 0x3f1, v7
	v_or_b32_e32 v3, 0x1000, v5
	v_med3_i32 v8, v8, 0, 13
	v_lshrrev_b32_e32 v10, v8, v3
	v_lshlrev_b32_e32 v8, v8, v10
	v_mul_f16_sdwa v4, v28, v4 dst_sel:DWORD dst_unused:UNUSED_PAD src0_sel:WORD_1 src1_sel:DWORD
	v_cmp_ne_u32_e32 vcc, v8, v3
	v_fma_f16 v4, v28, v9, -v4
	v_cndmask_b32_e64 v3, 0, 1, vcc
	v_add_u32_e32 v7, 0xfffffc10, v7
	v_cvt_f32_f16_e32 v4, v4
	v_or_b32_e32 v3, v10, v3
	v_lshl_or_b32 v8, v7, 12, v5
	v_cmp_gt_i32_e32 vcc, 1, v7
	v_cndmask_b32_e32 v3, v8, v3, vcc
	v_and_b32_e32 v8, 7, v3
	v_cmp_lt_i32_e32 vcc, 5, v8
	v_cmp_eq_u32_e64 s[0:1], 3, v8
	v_lshrrev_b32_e32 v8, 2, v3
	v_cvt_f64_f32_e32 v[3:4], v4
	s_or_b64 vcc, s[0:1], vcc
	v_addc_co_u32_e32 v8, vcc, 0, v8, vcc
	v_mul_f64 v[3:4], v[3:4], s[4:5]
	v_cmp_gt_i32_e32 vcc, 31, v7
	v_cndmask_b32_e32 v8, v0, v8, vcc
	v_cmp_ne_u32_e32 vcc, 0, v5
	v_cndmask_b32_e64 v5, 0, 1, vcc
	v_lshl_or_b32 v5, v5, 9, v0
	v_cmp_eq_u32_e32 vcc, s10, v7
	v_cndmask_b32_e32 v5, v8, v5, vcc
	v_and_or_b32 v3, v4, s6, v3
	v_lshrrev_b32_e32 v6, 16, v6
	v_cmp_ne_u32_e32 vcc, 0, v3
	v_and_or_b32 v9, v6, s11, v5
	v_cndmask_b32_e64 v3, 0, 1, vcc
	v_lshrrev_b32_e32 v5, 8, v4
	v_bfe_u32 v6, v4, 20, 11
	v_and_or_b32 v3, v5, s7, v3
	v_sub_u32_e32 v7, 0x3f1, v6
	v_or_b32_e32 v5, 0x1000, v3
	v_med3_i32 v7, v7, 0, 13
	v_lshrrev_b32_e32 v8, v7, v5
	v_lshlrev_b32_e32 v7, v7, v8
	v_cmp_ne_u32_e32 vcc, v7, v5
	v_cndmask_b32_e64 v5, 0, 1, vcc
	v_add_u32_e32 v7, 0xfffffc10, v6
	v_or_b32_e32 v5, v8, v5
	v_lshl_or_b32 v6, v7, 12, v3
	v_cmp_gt_i32_e32 vcc, 1, v7
	v_cndmask_b32_e32 v5, v6, v5, vcc
	v_and_b32_e32 v6, 7, v5
	v_cmp_lt_i32_e32 vcc, 5, v6
	v_cmp_eq_u32_e64 s[0:1], 3, v6
	v_lshrrev_b32_e32 v5, 2, v5
	s_or_b64 vcc, s[0:1], vcc
	v_addc_co_u32_e32 v8, vcc, 0, v5, vcc
	ds_read2_b32 v[5:6], v25 offset0:132 offset1:154
	v_cmp_gt_i32_e32 vcc, 31, v7
	v_cndmask_b32_e32 v8, v0, v8, vcc
	v_cmp_ne_u32_e32 vcc, 0, v3
	v_cndmask_b32_e64 v3, 0, 1, vcc
	s_waitcnt lgkmcnt(0)
	v_lshrrev_b32_e32 v10, 16, v5
	v_mul_f16_sdwa v11, v27, v10 dst_sel:DWORD dst_unused:UNUSED_PAD src0_sel:WORD_1 src1_sel:DWORD
	v_fma_f16 v11, v27, v5, v11
	v_cvt_f32_f16_e32 v11, v11
	v_lshl_or_b32 v3, v3, 9, v0
	v_cmp_eq_u32_e32 vcc, s10, v7
	v_cndmask_b32_e32 v3, v8, v3, vcc
	v_cvt_f64_f32_e32 v[7:8], v11
	v_lshrrev_b32_e32 v4, 16, v4
	v_and_or_b32 v11, v4, s11, v3
	v_add_co_u32_e32 v1, vcc, s3, v1
	v_mul_f64 v[3:4], v[7:8], s[4:5]
	v_mov_b32_e32 v8, s2
	v_and_b32_e32 v9, 0xffff, v9
	v_addc_co_u32_e32 v2, vcc, v2, v8, vcc
	v_lshl_or_b32 v7, v11, 16, v9
	global_store_dword v[1:2], v7, off
	v_mul_f16_sdwa v5, v27, v5 dst_sel:DWORD dst_unused:UNUSED_PAD src0_sel:WORD_1 src1_sel:DWORD
	v_and_or_b32 v3, v4, s6, v3
	v_cmp_ne_u32_e32 vcc, 0, v3
	v_cndmask_b32_e64 v3, 0, 1, vcc
	v_lshrrev_b32_e32 v7, 8, v4
	v_bfe_u32 v8, v4, 20, 11
	v_and_or_b32 v3, v7, s7, v3
	v_sub_u32_e32 v9, 0x3f1, v8
	v_or_b32_e32 v7, 0x1000, v3
	v_med3_i32 v9, v9, 0, 13
	v_lshrrev_b32_e32 v11, v9, v7
	v_lshlrev_b32_e32 v9, v9, v11
	v_cmp_ne_u32_e32 vcc, v9, v7
	v_fma_f16 v5, v27, v10, -v5
	v_cndmask_b32_e64 v7, 0, 1, vcc
	v_add_u32_e32 v9, 0xfffffc10, v8
	v_cvt_f32_f16_e32 v5, v5
	v_or_b32_e32 v7, v11, v7
	v_lshl_or_b32 v8, v9, 12, v3
	v_cmp_gt_i32_e32 vcc, 1, v9
	v_cndmask_b32_e32 v7, v8, v7, vcc
	v_and_b32_e32 v8, 7, v7
	v_cmp_lt_i32_e32 vcc, 5, v8
	v_cmp_eq_u32_e64 s[0:1], 3, v8
	v_lshrrev_b32_e32 v10, 2, v7
	v_cvt_f64_f32_e32 v[7:8], v5
	s_or_b64 vcc, s[0:1], vcc
	v_addc_co_u32_e32 v5, vcc, 0, v10, vcc
	v_mul_f64 v[7:8], v[7:8], s[4:5]
	v_cmp_gt_i32_e32 vcc, 31, v9
	v_cndmask_b32_e32 v5, v0, v5, vcc
	v_cmp_ne_u32_e32 vcc, 0, v3
	v_cndmask_b32_e64 v3, 0, 1, vcc
	v_lshl_or_b32 v3, v3, 9, v0
	v_cmp_eq_u32_e32 vcc, s10, v9
	v_cndmask_b32_e32 v3, v5, v3, vcc
	v_lshrrev_b32_e32 v4, 16, v4
	v_and_or_b32 v5, v4, s11, v3
	v_and_or_b32 v3, v8, s6, v7
	v_cmp_ne_u32_e32 vcc, 0, v3
	v_cndmask_b32_e64 v3, 0, 1, vcc
	v_lshrrev_b32_e32 v4, 8, v8
	v_bfe_u32 v7, v8, 20, 11
	v_and_or_b32 v3, v4, s7, v3
	v_sub_u32_e32 v9, 0x3f1, v7
	v_or_b32_e32 v4, 0x1000, v3
	v_med3_i32 v9, v9, 0, 13
	v_lshrrev_b32_e32 v10, v9, v4
	v_lshlrev_b32_e32 v9, v9, v10
	v_cmp_ne_u32_e32 vcc, v9, v4
	v_cndmask_b32_e64 v4, 0, 1, vcc
	v_add_u32_e32 v7, 0xfffffc10, v7
	v_or_b32_e32 v4, v10, v4
	v_lshl_or_b32 v9, v7, 12, v3
	v_cmp_gt_i32_e32 vcc, 1, v7
	v_cndmask_b32_e32 v4, v9, v4, vcc
	v_and_b32_e32 v9, 7, v4
	v_cmp_lt_i32_e32 vcc, 5, v9
	v_cmp_eq_u32_e64 s[0:1], 3, v9
	v_lshrrev_b32_e32 v9, 16, v6
	v_lshrrev_b32_e32 v4, 2, v4
	s_or_b64 vcc, s[0:1], vcc
	v_mul_f16_sdwa v10, v26, v9 dst_sel:DWORD dst_unused:UNUSED_PAD src0_sel:WORD_1 src1_sel:DWORD
	v_addc_co_u32_e32 v4, vcc, 0, v4, vcc
	v_fma_f16 v10, v26, v6, v10
	v_cmp_gt_i32_e32 vcc, 31, v7
	v_cvt_f32_f16_e32 v10, v10
	v_cndmask_b32_e32 v4, v0, v4, vcc
	v_cmp_ne_u32_e32 vcc, 0, v3
	v_cndmask_b32_e64 v3, 0, 1, vcc
	v_lshl_or_b32 v3, v3, 9, v0
	v_cmp_eq_u32_e32 vcc, s10, v7
	v_cndmask_b32_e32 v7, v4, v3, vcc
	v_cvt_f64_f32_e32 v[3:4], v10
	v_lshrrev_b32_e32 v8, 16, v8
	v_and_or_b32 v7, v8, s11, v7
	v_and_b32_e32 v5, 0xffff, v5
	v_mul_f64 v[3:4], v[3:4], s[4:5]
	v_lshl_or_b32 v5, v7, 16, v5
	v_mov_b32_e32 v7, s2
	v_add_co_u32_e32 v1, vcc, s3, v1
	v_addc_co_u32_e32 v2, vcc, v2, v7, vcc
	global_store_dword v[1:2], v5, off
	v_and_or_b32 v3, v4, s6, v3
	v_cmp_ne_u32_e32 vcc, 0, v3
	v_cndmask_b32_e64 v3, 0, 1, vcc
	v_lshrrev_b32_e32 v5, 8, v4
	v_bfe_u32 v7, v4, 20, 11
	v_and_or_b32 v3, v5, s7, v3
	v_sub_u32_e32 v8, 0x3f1, v7
	v_or_b32_e32 v5, 0x1000, v3
	v_med3_i32 v8, v8, 0, 13
	v_lshrrev_b32_e32 v10, v8, v5
	v_lshlrev_b32_e32 v8, v8, v10
	v_mul_f16_sdwa v6, v26, v6 dst_sel:DWORD dst_unused:UNUSED_PAD src0_sel:WORD_1 src1_sel:DWORD
	v_cmp_ne_u32_e32 vcc, v8, v5
	v_fma_f16 v6, v26, v9, -v6
	v_cndmask_b32_e64 v5, 0, 1, vcc
	v_add_u32_e32 v7, 0xfffffc10, v7
	v_cvt_f32_f16_e32 v6, v6
	v_or_b32_e32 v5, v10, v5
	v_lshl_or_b32 v8, v7, 12, v3
	v_cmp_gt_i32_e32 vcc, 1, v7
	v_cndmask_b32_e32 v5, v8, v5, vcc
	v_and_b32_e32 v8, 7, v5
	v_cmp_lt_i32_e32 vcc, 5, v8
	v_cmp_eq_u32_e64 s[0:1], 3, v8
	v_lshrrev_b32_e32 v8, 2, v5
	v_cvt_f64_f32_e32 v[5:6], v6
	s_or_b64 vcc, s[0:1], vcc
	v_addc_co_u32_e32 v8, vcc, 0, v8, vcc
	v_mul_f64 v[5:6], v[5:6], s[4:5]
	v_cmp_gt_i32_e32 vcc, 31, v7
	v_cndmask_b32_e32 v8, v0, v8, vcc
	v_cmp_ne_u32_e32 vcc, 0, v3
	v_cndmask_b32_e64 v3, 0, 1, vcc
	v_lshl_or_b32 v3, v3, 9, v0
	v_cmp_eq_u32_e32 vcc, s10, v7
	v_cndmask_b32_e32 v3, v8, v3, vcc
	v_lshrrev_b32_e32 v4, 16, v4
	v_and_or_b32 v9, v4, s11, v3
	v_and_or_b32 v3, v6, s6, v5
	v_cmp_ne_u32_e32 vcc, 0, v3
	v_cndmask_b32_e64 v3, 0, 1, vcc
	v_lshrrev_b32_e32 v4, 8, v6
	v_and_or_b32 v5, v4, s7, v3
	v_bfe_u32 v4, v6, 20, 11
	v_sub_u32_e32 v7, 0x3f1, v4
	v_or_b32_e32 v3, 0x1000, v5
	v_med3_i32 v7, v7, 0, 13
	v_lshrrev_b32_e32 v8, v7, v3
	v_lshlrev_b32_e32 v7, v7, v8
	v_cmp_ne_u32_e32 vcc, v7, v3
	v_cndmask_b32_e64 v3, 0, 1, vcc
	v_add_u32_e32 v7, 0xfffffc10, v4
	v_or_b32_e32 v3, v8, v3
	v_lshl_or_b32 v4, v7, 12, v5
	v_cmp_gt_i32_e32 vcc, 1, v7
	v_cndmask_b32_e32 v3, v4, v3, vcc
	v_and_b32_e32 v4, 7, v3
	v_cmp_lt_i32_e32 vcc, 5, v4
	v_cmp_eq_u32_e64 s[0:1], 3, v4
	v_lshrrev_b32_e32 v3, 2, v3
	s_or_b64 vcc, s[0:1], vcc
	v_addc_co_u32_e32 v8, vcc, 0, v3, vcc
	ds_read2_b32 v[3:4], v25 offset0:176 offset1:198
	v_cmp_gt_i32_e32 vcc, 31, v7
	v_cndmask_b32_e32 v8, v0, v8, vcc
	v_cmp_ne_u32_e32 vcc, 0, v5
	v_cndmask_b32_e64 v5, 0, 1, vcc
	s_waitcnt lgkmcnt(0)
	v_lshrrev_b32_e32 v10, 16, v3
	v_mul_f16_sdwa v11, v24, v10 dst_sel:DWORD dst_unused:UNUSED_PAD src0_sel:WORD_1 src1_sel:DWORD
	v_fma_f16 v11, v24, v3, v11
	v_cvt_f32_f16_e32 v11, v11
	v_lshl_or_b32 v5, v5, 9, v0
	v_cmp_eq_u32_e32 vcc, s10, v7
	v_cndmask_b32_e32 v5, v8, v5, vcc
	v_cvt_f64_f32_e32 v[7:8], v11
	v_lshrrev_b32_e32 v6, 16, v6
	v_and_or_b32 v11, v6, s11, v5
	v_add_co_u32_e32 v1, vcc, s3, v1
	v_mul_f64 v[5:6], v[7:8], s[4:5]
	v_mov_b32_e32 v8, s2
	v_and_b32_e32 v9, 0xffff, v9
	v_addc_co_u32_e32 v2, vcc, v2, v8, vcc
	v_lshl_or_b32 v7, v11, 16, v9
	global_store_dword v[1:2], v7, off
	v_mul_f16_sdwa v3, v24, v3 dst_sel:DWORD dst_unused:UNUSED_PAD src0_sel:WORD_1 src1_sel:DWORD
	v_and_or_b32 v5, v6, s6, v5
	v_cmp_ne_u32_e32 vcc, 0, v5
	v_cndmask_b32_e64 v5, 0, 1, vcc
	v_lshrrev_b32_e32 v7, 8, v6
	v_bfe_u32 v8, v6, 20, 11
	v_and_or_b32 v5, v7, s7, v5
	v_sub_u32_e32 v9, 0x3f1, v8
	v_or_b32_e32 v7, 0x1000, v5
	v_med3_i32 v9, v9, 0, 13
	v_lshrrev_b32_e32 v11, v9, v7
	v_lshlrev_b32_e32 v9, v9, v11
	v_cmp_ne_u32_e32 vcc, v9, v7
	v_fma_f16 v3, v24, v10, -v3
	v_cndmask_b32_e64 v7, 0, 1, vcc
	v_add_u32_e32 v9, 0xfffffc10, v8
	v_cvt_f32_f16_e32 v3, v3
	v_or_b32_e32 v7, v11, v7
	v_lshl_or_b32 v8, v9, 12, v5
	v_cmp_gt_i32_e32 vcc, 1, v9
	v_cndmask_b32_e32 v7, v8, v7, vcc
	v_and_b32_e32 v8, 7, v7
	v_cmp_lt_i32_e32 vcc, 5, v8
	v_cmp_eq_u32_e64 s[0:1], 3, v8
	v_lshrrev_b32_e32 v10, 2, v7
	v_cvt_f64_f32_e32 v[7:8], v3
	s_or_b64 vcc, s[0:1], vcc
	v_addc_co_u32_e32 v3, vcc, 0, v10, vcc
	v_mul_f64 v[7:8], v[7:8], s[4:5]
	v_cmp_gt_i32_e32 vcc, 31, v9
	v_cndmask_b32_e32 v3, v0, v3, vcc
	v_cmp_ne_u32_e32 vcc, 0, v5
	v_cndmask_b32_e64 v5, 0, 1, vcc
	v_lshl_or_b32 v5, v5, 9, v0
	v_cmp_eq_u32_e32 vcc, s10, v9
	v_cndmask_b32_e32 v3, v3, v5, vcc
	v_lshrrev_b32_e32 v5, 16, v6
	v_and_or_b32 v3, v5, s11, v3
	v_and_or_b32 v5, v8, s6, v7
	v_cmp_ne_u32_e32 vcc, 0, v5
	v_cndmask_b32_e64 v5, 0, 1, vcc
	v_lshrrev_b32_e32 v6, 8, v8
	v_bfe_u32 v7, v8, 20, 11
	v_and_or_b32 v5, v6, s7, v5
	v_sub_u32_e32 v9, 0x3f1, v7
	v_or_b32_e32 v6, 0x1000, v5
	v_med3_i32 v9, v9, 0, 13
	v_lshrrev_b32_e32 v10, v9, v6
	v_lshlrev_b32_e32 v9, v9, v10
	v_cmp_ne_u32_e32 vcc, v9, v6
	v_cndmask_b32_e64 v6, 0, 1, vcc
	v_add_u32_e32 v7, 0xfffffc10, v7
	v_or_b32_e32 v6, v10, v6
	v_lshl_or_b32 v9, v7, 12, v5
	v_cmp_gt_i32_e32 vcc, 1, v7
	v_cndmask_b32_e32 v6, v9, v6, vcc
	v_and_b32_e32 v9, 7, v6
	v_cmp_lt_i32_e32 vcc, 5, v9
	v_cmp_eq_u32_e64 s[0:1], 3, v9
	v_lshrrev_b32_e32 v9, 16, v4
	v_lshrrev_b32_e32 v6, 2, v6
	s_or_b64 vcc, s[0:1], vcc
	v_mul_f16_sdwa v10, v23, v9 dst_sel:DWORD dst_unused:UNUSED_PAD src0_sel:WORD_1 src1_sel:DWORD
	v_addc_co_u32_e32 v6, vcc, 0, v6, vcc
	v_fma_f16 v10, v23, v4, v10
	v_cmp_gt_i32_e32 vcc, 31, v7
	v_cvt_f32_f16_e32 v10, v10
	v_cndmask_b32_e32 v6, v0, v6, vcc
	v_cmp_ne_u32_e32 vcc, 0, v5
	v_cndmask_b32_e64 v5, 0, 1, vcc
	v_lshl_or_b32 v5, v5, 9, v0
	v_cmp_eq_u32_e32 vcc, s10, v7
	v_cndmask_b32_e32 v7, v6, v5, vcc
	v_cvt_f64_f32_e32 v[5:6], v10
	v_lshrrev_b32_e32 v8, 16, v8
	v_and_or_b32 v7, v8, s11, v7
	v_and_b32_e32 v3, 0xffff, v3
	v_mul_f64 v[5:6], v[5:6], s[4:5]
	v_lshl_or_b32 v3, v7, 16, v3
	v_mov_b32_e32 v7, s2
	v_add_co_u32_e32 v1, vcc, s3, v1
	v_addc_co_u32_e32 v2, vcc, v2, v7, vcc
	global_store_dword v[1:2], v3, off
	v_and_or_b32 v3, v6, s6, v5
	v_cmp_ne_u32_e32 vcc, 0, v3
	v_cndmask_b32_e64 v3, 0, 1, vcc
	v_lshrrev_b32_e32 v5, 8, v6
	v_bfe_u32 v7, v6, 20, 11
	v_and_or_b32 v5, v5, s7, v3
	v_sub_u32_e32 v8, 0x3f1, v7
	v_or_b32_e32 v3, 0x1000, v5
	v_med3_i32 v8, v8, 0, 13
	v_lshrrev_b32_e32 v10, v8, v3
	v_lshlrev_b32_e32 v8, v8, v10
	v_mul_f16_sdwa v4, v23, v4 dst_sel:DWORD dst_unused:UNUSED_PAD src0_sel:WORD_1 src1_sel:DWORD
	v_cmp_ne_u32_e32 vcc, v8, v3
	v_fma_f16 v4, v23, v9, -v4
	v_cndmask_b32_e64 v3, 0, 1, vcc
	v_add_u32_e32 v7, 0xfffffc10, v7
	v_cvt_f32_f16_e32 v4, v4
	v_or_b32_e32 v3, v10, v3
	v_lshl_or_b32 v8, v7, 12, v5
	v_cmp_gt_i32_e32 vcc, 1, v7
	v_cndmask_b32_e32 v3, v8, v3, vcc
	v_and_b32_e32 v8, 7, v3
	v_cmp_lt_i32_e32 vcc, 5, v8
	v_cmp_eq_u32_e64 s[0:1], 3, v8
	v_lshrrev_b32_e32 v8, 2, v3
	v_cvt_f64_f32_e32 v[3:4], v4
	s_or_b64 vcc, s[0:1], vcc
	v_addc_co_u32_e32 v8, vcc, 0, v8, vcc
	v_mul_f64 v[3:4], v[3:4], s[4:5]
	v_cmp_gt_i32_e32 vcc, 31, v7
	v_cndmask_b32_e32 v8, v0, v8, vcc
	v_cmp_ne_u32_e32 vcc, 0, v5
	v_cndmask_b32_e64 v5, 0, 1, vcc
	v_lshl_or_b32 v5, v5, 9, v0
	v_cmp_eq_u32_e32 vcc, s10, v7
	v_cndmask_b32_e32 v5, v8, v5, vcc
	v_and_or_b32 v3, v4, s6, v3
	v_lshrrev_b32_e32 v6, 16, v6
	v_cmp_ne_u32_e32 vcc, 0, v3
	v_and_or_b32 v5, v6, s11, v5
	v_cndmask_b32_e64 v3, 0, 1, vcc
	v_lshrrev_b32_e32 v6, 8, v4
	v_bfe_u32 v7, v4, 20, 11
	v_and_or_b32 v3, v6, s7, v3
	v_sub_u32_e32 v8, 0x3f1, v7
	v_or_b32_e32 v6, 0x1000, v3
	v_med3_i32 v8, v8, 0, 13
	v_lshrrev_b32_e32 v9, v8, v6
	v_lshlrev_b32_e32 v8, v8, v9
	v_cmp_ne_u32_e32 vcc, v8, v6
	v_cndmask_b32_e64 v6, 0, 1, vcc
	v_add_u32_e32 v7, 0xfffffc10, v7
	v_or_b32_e32 v6, v9, v6
	v_lshl_or_b32 v8, v7, 12, v3
	v_cmp_gt_i32_e32 vcc, 1, v7
	v_cndmask_b32_e32 v6, v8, v6, vcc
	v_and_b32_e32 v8, 7, v6
	v_cmp_lt_i32_e32 vcc, 5, v8
	v_cmp_eq_u32_e64 s[0:1], 3, v8
	v_lshrrev_b32_e32 v6, 2, v6
	s_or_b64 vcc, s[0:1], vcc
	v_addc_co_u32_e32 v6, vcc, 0, v6, vcc
	v_cmp_gt_i32_e32 vcc, 31, v7
	v_cndmask_b32_e32 v6, v0, v6, vcc
	v_cmp_ne_u32_e32 vcc, 0, v3
	v_cndmask_b32_e64 v3, 0, 1, vcc
	v_lshl_or_b32 v0, v3, 9, v0
	v_cmp_eq_u32_e32 vcc, s10, v7
	v_cndmask_b32_e32 v0, v6, v0, vcc
	v_lshrrev_b32_e32 v3, 16, v4
	v_and_or_b32 v0, v3, s11, v0
	v_and_b32_e32 v3, 0xffff, v5
	v_lshl_or_b32 v3, v0, 16, v3
	v_mov_b32_e32 v4, s2
	v_add_co_u32_e32 v0, vcc, s3, v1
	v_addc_co_u32_e32 v1, vcc, v2, v4, vcc
	global_store_dword v[0:1], v3, off
.LBB0_10:
	s_endpgm
	.section	.rodata,"a",@progbits
	.p2align	6, 0x0
	.amdhsa_kernel bluestein_single_fwd_len220_dim1_half_op_CI_CI
		.amdhsa_group_segment_fixed_size 4400
		.amdhsa_private_segment_fixed_size 0
		.amdhsa_kernarg_size 104
		.amdhsa_user_sgpr_count 6
		.amdhsa_user_sgpr_private_segment_buffer 1
		.amdhsa_user_sgpr_dispatch_ptr 0
		.amdhsa_user_sgpr_queue_ptr 0
		.amdhsa_user_sgpr_kernarg_segment_ptr 1
		.amdhsa_user_sgpr_dispatch_id 0
		.amdhsa_user_sgpr_flat_scratch_init 0
		.amdhsa_user_sgpr_private_segment_size 0
		.amdhsa_uses_dynamic_stack 0
		.amdhsa_system_sgpr_private_segment_wavefront_offset 0
		.amdhsa_system_sgpr_workgroup_id_x 1
		.amdhsa_system_sgpr_workgroup_id_y 0
		.amdhsa_system_sgpr_workgroup_id_z 0
		.amdhsa_system_sgpr_workgroup_info 0
		.amdhsa_system_vgpr_workitem_id 0
		.amdhsa_next_free_vgpr 141
		.amdhsa_next_free_sgpr 25
		.amdhsa_reserve_vcc 1
		.amdhsa_reserve_flat_scratch 0
		.amdhsa_float_round_mode_32 0
		.amdhsa_float_round_mode_16_64 0
		.amdhsa_float_denorm_mode_32 3
		.amdhsa_float_denorm_mode_16_64 3
		.amdhsa_dx10_clamp 1
		.amdhsa_ieee_mode 1
		.amdhsa_fp16_overflow 0
		.amdhsa_exception_fp_ieee_invalid_op 0
		.amdhsa_exception_fp_denorm_src 0
		.amdhsa_exception_fp_ieee_div_zero 0
		.amdhsa_exception_fp_ieee_overflow 0
		.amdhsa_exception_fp_ieee_underflow 0
		.amdhsa_exception_fp_ieee_inexact 0
		.amdhsa_exception_int_div_zero 0
	.end_amdhsa_kernel
	.text
.Lfunc_end0:
	.size	bluestein_single_fwd_len220_dim1_half_op_CI_CI, .Lfunc_end0-bluestein_single_fwd_len220_dim1_half_op_CI_CI
                                        ; -- End function
	.section	.AMDGPU.csdata,"",@progbits
; Kernel info:
; codeLenInByte = 15436
; NumSgprs: 29
; NumVgprs: 141
; ScratchSize: 0
; MemoryBound: 0
; FloatMode: 240
; IeeeMode: 1
; LDSByteSize: 4400 bytes/workgroup (compile time only)
; SGPRBlocks: 3
; VGPRBlocks: 35
; NumSGPRsForWavesPerEU: 29
; NumVGPRsForWavesPerEU: 141
; Occupancy: 1
; WaveLimiterHint : 1
; COMPUTE_PGM_RSRC2:SCRATCH_EN: 0
; COMPUTE_PGM_RSRC2:USER_SGPR: 6
; COMPUTE_PGM_RSRC2:TRAP_HANDLER: 0
; COMPUTE_PGM_RSRC2:TGID_X_EN: 1
; COMPUTE_PGM_RSRC2:TGID_Y_EN: 0
; COMPUTE_PGM_RSRC2:TGID_Z_EN: 0
; COMPUTE_PGM_RSRC2:TIDIG_COMP_CNT: 0
	.type	__hip_cuid_724657626311d728,@object ; @__hip_cuid_724657626311d728
	.section	.bss,"aw",@nobits
	.globl	__hip_cuid_724657626311d728
__hip_cuid_724657626311d728:
	.byte	0                               ; 0x0
	.size	__hip_cuid_724657626311d728, 1

	.ident	"AMD clang version 19.0.0git (https://github.com/RadeonOpenCompute/llvm-project roc-6.4.0 25133 c7fe45cf4b819c5991fe208aaa96edf142730f1d)"
	.section	".note.GNU-stack","",@progbits
	.addrsig
	.addrsig_sym __hip_cuid_724657626311d728
	.amdgpu_metadata
---
amdhsa.kernels:
  - .args:
      - .actual_access:  read_only
        .address_space:  global
        .offset:         0
        .size:           8
        .value_kind:     global_buffer
      - .actual_access:  read_only
        .address_space:  global
        .offset:         8
        .size:           8
        .value_kind:     global_buffer
      - .actual_access:  read_only
        .address_space:  global
        .offset:         16
        .size:           8
        .value_kind:     global_buffer
      - .actual_access:  read_only
        .address_space:  global
        .offset:         24
        .size:           8
        .value_kind:     global_buffer
      - .actual_access:  read_only
        .address_space:  global
        .offset:         32
        .size:           8
        .value_kind:     global_buffer
      - .offset:         40
        .size:           8
        .value_kind:     by_value
      - .address_space:  global
        .offset:         48
        .size:           8
        .value_kind:     global_buffer
      - .address_space:  global
        .offset:         56
        .size:           8
        .value_kind:     global_buffer
      - .address_space:  global
        .offset:         64
        .size:           8
        .value_kind:     global_buffer
      - .address_space:  global
        .offset:         72
        .size:           8
        .value_kind:     global_buffer
      - .offset:         80
        .size:           4
        .value_kind:     by_value
      - .address_space:  global
        .offset:         88
        .size:           8
        .value_kind:     global_buffer
      - .address_space:  global
        .offset:         96
        .size:           8
        .value_kind:     global_buffer
    .group_segment_fixed_size: 4400
    .kernarg_segment_align: 8
    .kernarg_segment_size: 104
    .language:       OpenCL C
    .language_version:
      - 2
      - 0
    .max_flat_workgroup_size: 110
    .name:           bluestein_single_fwd_len220_dim1_half_op_CI_CI
    .private_segment_fixed_size: 0
    .sgpr_count:     29
    .sgpr_spill_count: 0
    .symbol:         bluestein_single_fwd_len220_dim1_half_op_CI_CI.kd
    .uniform_work_group_size: 1
    .uses_dynamic_stack: false
    .vgpr_count:     141
    .vgpr_spill_count: 0
    .wavefront_size: 64
amdhsa.target:   amdgcn-amd-amdhsa--gfx906
amdhsa.version:
  - 1
  - 2
...

	.end_amdgpu_metadata
